;; amdgpu-corpus repo=ROCm/rocFFT kind=compiled arch=gfx1201 opt=O3
	.text
	.amdgcn_target "amdgcn-amd-amdhsa--gfx1201"
	.amdhsa_code_object_version 6
	.protected	fft_rtc_fwd_len544_factors_17_2_16_wgs_102_tpt_34_halfLds_dp_ip_CI_unitstride_sbrr_R2C_dirReg ; -- Begin function fft_rtc_fwd_len544_factors_17_2_16_wgs_102_tpt_34_halfLds_dp_ip_CI_unitstride_sbrr_R2C_dirReg
	.globl	fft_rtc_fwd_len544_factors_17_2_16_wgs_102_tpt_34_halfLds_dp_ip_CI_unitstride_sbrr_R2C_dirReg
	.p2align	8
	.type	fft_rtc_fwd_len544_factors_17_2_16_wgs_102_tpt_34_halfLds_dp_ip_CI_unitstride_sbrr_R2C_dirReg,@function
fft_rtc_fwd_len544_factors_17_2_16_wgs_102_tpt_34_halfLds_dp_ip_CI_unitstride_sbrr_R2C_dirReg: ; @fft_rtc_fwd_len544_factors_17_2_16_wgs_102_tpt_34_halfLds_dp_ip_CI_unitstride_sbrr_R2C_dirReg
; %bb.0:
	s_load_b128 s[4:7], s[0:1], 0x0
	v_mul_u32_u24_e32 v1, 0x788, v0
	s_clause 0x1
	s_load_b64 s[8:9], s[0:1], 0x50
	s_load_b64 s[10:11], s[0:1], 0x18
	v_mov_b32_e32 v5, 0
	v_lshrrev_b32_e32 v1, 16, v1
	s_delay_alu instid0(VALU_DEP_1) | instskip(SKIP_3) | instid1(VALU_DEP_1)
	v_mad_co_u64_u32 v[1:2], null, ttmp9, 3, v[1:2]
	v_mov_b32_e32 v3, 0
	v_mov_b32_e32 v4, 0
	;; [unrolled: 1-line block ×4, first 2 shown]
	s_wait_kmcnt 0x0
	v_cmp_lt_u64_e64 s2, s[6:7], 2
	v_mov_b32_e32 v9, v1
	s_delay_alu instid0(VALU_DEP_2)
	s_and_b32 vcc_lo, exec_lo, s2
	s_cbranch_vccnz .LBB0_8
; %bb.1:
	s_load_b64 s[2:3], s[0:1], 0x10
	v_dual_mov_b32 v3, 0 :: v_dual_mov_b32 v8, v2
	v_dual_mov_b32 v4, 0 :: v_dual_mov_b32 v7, v1
	s_add_nc_u64 s[12:13], s[10:11], 8
	s_mov_b64 s[14:15], 1
	s_wait_kmcnt 0x0
	s_add_nc_u64 s[16:17], s[2:3], 8
	s_mov_b32 s3, 0
.LBB0_2:                                ; =>This Inner Loop Header: Depth=1
	s_load_b64 s[18:19], s[16:17], 0x0
                                        ; implicit-def: $vgpr9_vgpr10
	s_mov_b32 s2, exec_lo
	s_wait_kmcnt 0x0
	v_or_b32_e32 v6, s19, v8
	s_delay_alu instid0(VALU_DEP_1)
	v_cmpx_ne_u64_e32 0, v[5:6]
	s_wait_alu 0xfffe
	s_xor_b32 s20, exec_lo, s2
	s_cbranch_execz .LBB0_4
; %bb.3:                                ;   in Loop: Header=BB0_2 Depth=1
	s_cvt_f32_u32 s2, s18
	s_cvt_f32_u32 s21, s19
	s_sub_nc_u64 s[24:25], 0, s[18:19]
	s_wait_alu 0xfffe
	s_delay_alu instid0(SALU_CYCLE_1) | instskip(SKIP_1) | instid1(SALU_CYCLE_2)
	s_fmamk_f32 s2, s21, 0x4f800000, s2
	s_wait_alu 0xfffe
	v_s_rcp_f32 s2, s2
	s_delay_alu instid0(TRANS32_DEP_1) | instskip(SKIP_1) | instid1(SALU_CYCLE_2)
	s_mul_f32 s2, s2, 0x5f7ffffc
	s_wait_alu 0xfffe
	s_mul_f32 s21, s2, 0x2f800000
	s_wait_alu 0xfffe
	s_delay_alu instid0(SALU_CYCLE_2) | instskip(SKIP_1) | instid1(SALU_CYCLE_2)
	s_trunc_f32 s21, s21
	s_wait_alu 0xfffe
	s_fmamk_f32 s2, s21, 0xcf800000, s2
	s_cvt_u32_f32 s23, s21
	s_wait_alu 0xfffe
	s_delay_alu instid0(SALU_CYCLE_1) | instskip(SKIP_1) | instid1(SALU_CYCLE_2)
	s_cvt_u32_f32 s22, s2
	s_wait_alu 0xfffe
	s_mul_u64 s[26:27], s[24:25], s[22:23]
	s_wait_alu 0xfffe
	s_mul_hi_u32 s29, s22, s27
	s_mul_i32 s28, s22, s27
	s_mul_hi_u32 s2, s22, s26
	s_mul_i32 s30, s23, s26
	s_wait_alu 0xfffe
	s_add_nc_u64 s[28:29], s[2:3], s[28:29]
	s_mul_hi_u32 s21, s23, s26
	s_mul_hi_u32 s31, s23, s27
	s_add_co_u32 s2, s28, s30
	s_wait_alu 0xfffe
	s_add_co_ci_u32 s2, s29, s21
	s_mul_i32 s26, s23, s27
	s_add_co_ci_u32 s27, s31, 0
	s_wait_alu 0xfffe
	s_add_nc_u64 s[26:27], s[2:3], s[26:27]
	s_wait_alu 0xfffe
	v_add_co_u32 v2, s2, s22, s26
	s_delay_alu instid0(VALU_DEP_1) | instskip(SKIP_1) | instid1(VALU_DEP_1)
	s_cmp_lg_u32 s2, 0
	s_add_co_ci_u32 s23, s23, s27
	v_readfirstlane_b32 s22, v2
	s_wait_alu 0xfffe
	s_delay_alu instid0(VALU_DEP_1)
	s_mul_u64 s[24:25], s[24:25], s[22:23]
	s_wait_alu 0xfffe
	s_mul_hi_u32 s27, s22, s25
	s_mul_i32 s26, s22, s25
	s_mul_hi_u32 s2, s22, s24
	s_mul_i32 s28, s23, s24
	s_wait_alu 0xfffe
	s_add_nc_u64 s[26:27], s[2:3], s[26:27]
	s_mul_hi_u32 s21, s23, s24
	s_mul_hi_u32 s22, s23, s25
	s_wait_alu 0xfffe
	s_add_co_u32 s2, s26, s28
	s_add_co_ci_u32 s2, s27, s21
	s_mul_i32 s24, s23, s25
	s_add_co_ci_u32 s25, s22, 0
	s_wait_alu 0xfffe
	s_add_nc_u64 s[24:25], s[2:3], s[24:25]
	s_wait_alu 0xfffe
	v_add_co_u32 v2, s2, v2, s24
	s_delay_alu instid0(VALU_DEP_1) | instskip(SKIP_1) | instid1(VALU_DEP_1)
	s_cmp_lg_u32 s2, 0
	s_add_co_ci_u32 s2, s23, s25
	v_mul_hi_u32 v6, v7, v2
	s_wait_alu 0xfffe
	v_mad_co_u64_u32 v[9:10], null, v7, s2, 0
	v_mad_co_u64_u32 v[11:12], null, v8, v2, 0
	;; [unrolled: 1-line block ×3, first 2 shown]
	s_delay_alu instid0(VALU_DEP_3) | instskip(SKIP_1) | instid1(VALU_DEP_4)
	v_add_co_u32 v2, vcc_lo, v6, v9
	s_wait_alu 0xfffd
	v_add_co_ci_u32_e32 v6, vcc_lo, 0, v10, vcc_lo
	s_delay_alu instid0(VALU_DEP_2) | instskip(SKIP_1) | instid1(VALU_DEP_2)
	v_add_co_u32 v2, vcc_lo, v2, v11
	s_wait_alu 0xfffd
	v_add_co_ci_u32_e32 v2, vcc_lo, v6, v12, vcc_lo
	s_wait_alu 0xfffd
	v_add_co_ci_u32_e32 v6, vcc_lo, 0, v14, vcc_lo
	s_delay_alu instid0(VALU_DEP_2) | instskip(SKIP_1) | instid1(VALU_DEP_2)
	v_add_co_u32 v2, vcc_lo, v2, v13
	s_wait_alu 0xfffd
	v_add_co_ci_u32_e32 v6, vcc_lo, 0, v6, vcc_lo
	s_delay_alu instid0(VALU_DEP_2) | instskip(SKIP_1) | instid1(VALU_DEP_3)
	v_mul_lo_u32 v11, s19, v2
	v_mad_co_u64_u32 v[9:10], null, s18, v2, 0
	v_mul_lo_u32 v12, s18, v6
	s_delay_alu instid0(VALU_DEP_2) | instskip(NEXT) | instid1(VALU_DEP_2)
	v_sub_co_u32 v9, vcc_lo, v7, v9
	v_add3_u32 v10, v10, v12, v11
	s_delay_alu instid0(VALU_DEP_1) | instskip(SKIP_1) | instid1(VALU_DEP_1)
	v_sub_nc_u32_e32 v11, v8, v10
	s_wait_alu 0xfffd
	v_subrev_co_ci_u32_e64 v11, s2, s19, v11, vcc_lo
	v_add_co_u32 v12, s2, v2, 2
	s_wait_alu 0xf1ff
	v_add_co_ci_u32_e64 v13, s2, 0, v6, s2
	v_sub_co_u32 v14, s2, v9, s18
	v_sub_co_ci_u32_e32 v10, vcc_lo, v8, v10, vcc_lo
	s_wait_alu 0xf1ff
	v_subrev_co_ci_u32_e64 v11, s2, 0, v11, s2
	s_delay_alu instid0(VALU_DEP_3) | instskip(NEXT) | instid1(VALU_DEP_3)
	v_cmp_le_u32_e32 vcc_lo, s18, v14
	v_cmp_eq_u32_e64 s2, s19, v10
	s_wait_alu 0xfffd
	v_cndmask_b32_e64 v14, 0, -1, vcc_lo
	v_cmp_le_u32_e32 vcc_lo, s19, v11
	s_wait_alu 0xfffd
	v_cndmask_b32_e64 v15, 0, -1, vcc_lo
	v_cmp_le_u32_e32 vcc_lo, s18, v9
	;; [unrolled: 3-line block ×3, first 2 shown]
	s_wait_alu 0xfffd
	v_cndmask_b32_e64 v16, 0, -1, vcc_lo
	v_cmp_eq_u32_e32 vcc_lo, s19, v11
	s_wait_alu 0xf1ff
	s_delay_alu instid0(VALU_DEP_2)
	v_cndmask_b32_e64 v9, v16, v9, s2
	s_wait_alu 0xfffd
	v_cndmask_b32_e32 v11, v15, v14, vcc_lo
	v_add_co_u32 v14, vcc_lo, v2, 1
	s_wait_alu 0xfffd
	v_add_co_ci_u32_e32 v15, vcc_lo, 0, v6, vcc_lo
	s_delay_alu instid0(VALU_DEP_3) | instskip(SKIP_1) | instid1(VALU_DEP_2)
	v_cmp_ne_u32_e32 vcc_lo, 0, v11
	s_wait_alu 0xfffd
	v_dual_cndmask_b32 v10, v15, v13 :: v_dual_cndmask_b32 v11, v14, v12
	v_cmp_ne_u32_e32 vcc_lo, 0, v9
	s_wait_alu 0xfffd
	s_delay_alu instid0(VALU_DEP_2) | instskip(NEXT) | instid1(VALU_DEP_3)
	v_cndmask_b32_e32 v10, v6, v10, vcc_lo
	v_cndmask_b32_e32 v9, v2, v11, vcc_lo
.LBB0_4:                                ;   in Loop: Header=BB0_2 Depth=1
	s_wait_alu 0xfffe
	s_and_not1_saveexec_b32 s2, s20
	s_cbranch_execz .LBB0_6
; %bb.5:                                ;   in Loop: Header=BB0_2 Depth=1
	v_cvt_f32_u32_e32 v2, s18
	s_sub_co_i32 s20, 0, s18
	s_delay_alu instid0(VALU_DEP_1) | instskip(NEXT) | instid1(TRANS32_DEP_1)
	v_rcp_iflag_f32_e32 v2, v2
	v_mul_f32_e32 v2, 0x4f7ffffe, v2
	s_delay_alu instid0(VALU_DEP_1) | instskip(SKIP_1) | instid1(VALU_DEP_1)
	v_cvt_u32_f32_e32 v2, v2
	s_wait_alu 0xfffe
	v_mul_lo_u32 v6, s20, v2
	s_delay_alu instid0(VALU_DEP_1) | instskip(NEXT) | instid1(VALU_DEP_1)
	v_mul_hi_u32 v6, v2, v6
	v_add_nc_u32_e32 v2, v2, v6
	s_delay_alu instid0(VALU_DEP_1) | instskip(NEXT) | instid1(VALU_DEP_1)
	v_mul_hi_u32 v2, v7, v2
	v_mul_lo_u32 v6, v2, s18
	v_add_nc_u32_e32 v9, 1, v2
	s_delay_alu instid0(VALU_DEP_2) | instskip(NEXT) | instid1(VALU_DEP_1)
	v_sub_nc_u32_e32 v6, v7, v6
	v_subrev_nc_u32_e32 v10, s18, v6
	v_cmp_le_u32_e32 vcc_lo, s18, v6
	s_wait_alu 0xfffd
	s_delay_alu instid0(VALU_DEP_2) | instskip(SKIP_2) | instid1(VALU_DEP_3)
	v_cndmask_b32_e32 v6, v6, v10, vcc_lo
	v_mov_b32_e32 v10, v5
	v_cndmask_b32_e32 v2, v2, v9, vcc_lo
	v_cmp_le_u32_e32 vcc_lo, s18, v6
	s_delay_alu instid0(VALU_DEP_2) | instskip(SKIP_1) | instid1(VALU_DEP_1)
	v_add_nc_u32_e32 v9, 1, v2
	s_wait_alu 0xfffd
	v_cndmask_b32_e32 v9, v2, v9, vcc_lo
.LBB0_6:                                ;   in Loop: Header=BB0_2 Depth=1
	s_wait_alu 0xfffe
	s_or_b32 exec_lo, exec_lo, s2
	s_load_b64 s[20:21], s[12:13], 0x0
	v_mul_lo_u32 v2, v10, s18
	v_mul_lo_u32 v6, v9, s19
	v_mad_co_u64_u32 v[11:12], null, v9, s18, 0
	s_add_nc_u64 s[14:15], s[14:15], 1
	s_add_nc_u64 s[12:13], s[12:13], 8
	s_wait_alu 0xfffe
	v_cmp_ge_u64_e64 s2, s[14:15], s[6:7]
	s_add_nc_u64 s[16:17], s[16:17], 8
	s_delay_alu instid0(VALU_DEP_2) | instskip(NEXT) | instid1(VALU_DEP_3)
	v_add3_u32 v2, v12, v6, v2
	v_sub_co_u32 v6, vcc_lo, v7, v11
	s_wait_alu 0xfffd
	s_delay_alu instid0(VALU_DEP_2) | instskip(SKIP_3) | instid1(VALU_DEP_2)
	v_sub_co_ci_u32_e32 v2, vcc_lo, v8, v2, vcc_lo
	s_and_b32 vcc_lo, exec_lo, s2
	s_wait_kmcnt 0x0
	v_mul_lo_u32 v7, s21, v6
	v_mul_lo_u32 v2, s20, v2
	v_mad_co_u64_u32 v[3:4], null, s20, v6, v[3:4]
	s_delay_alu instid0(VALU_DEP_1)
	v_add3_u32 v4, v7, v4, v2
	s_wait_alu 0xfffe
	s_cbranch_vccnz .LBB0_8
; %bb.7:                                ;   in Loop: Header=BB0_2 Depth=1
	v_dual_mov_b32 v7, v9 :: v_dual_mov_b32 v8, v10
	s_branch .LBB0_2
.LBB0_8:
	s_lshl_b64 s[2:3], s[6:7], 3
	v_mul_hi_u32 v2, 0xaaaaaaab, v1
	s_wait_alu 0xfffe
	s_add_nc_u64 s[2:3], s[10:11], s[2:3]
	s_load_b64 s[0:1], s[0:1], 0x20
	s_load_b64 s[2:3], s[2:3], 0x0
	v_mul_hi_u32 v5, 0x7878788, v0
	s_delay_alu instid0(VALU_DEP_2) | instskip(NEXT) | instid1(VALU_DEP_1)
	v_lshrrev_b32_e32 v2, 1, v2
	v_lshl_add_u32 v6, v2, 1, v2
	s_delay_alu instid0(VALU_DEP_1)
	v_sub_nc_u32_e32 v1, v1, v6
	s_wait_kmcnt 0x0
	v_cmp_gt_u64_e32 vcc_lo, s[0:1], v[9:10]
	v_mul_lo_u32 v7, s2, v10
	v_mul_lo_u32 v8, s3, v9
	v_mad_co_u64_u32 v[2:3], null, s2, v9, v[3:4]
	v_mul_u32_u24_e32 v4, 34, v5
	v_mul_u32_u24_e32 v1, 0x221, v1
	s_delay_alu instid0(VALU_DEP_2) | instskip(NEXT) | instid1(VALU_DEP_4)
	v_sub_nc_u32_e32 v68, v0, v4
	v_add3_u32 v3, v8, v3, v7
	s_delay_alu instid0(VALU_DEP_3) | instskip(NEXT) | instid1(VALU_DEP_3)
	v_lshlrev_b32_e32 v149, 4, v1
	v_lshlrev_b32_e32 v147, 4, v68
	s_delay_alu instid0(VALU_DEP_3)
	v_lshlrev_b64_e32 v[70:71], 4, v[2:3]
	s_and_saveexec_b32 s1, vcc_lo
	s_cbranch_execz .LBB0_10
; %bb.9:
	v_mov_b32_e32 v69, 0
	s_delay_alu instid0(VALU_DEP_2) | instskip(SKIP_2) | instid1(VALU_DEP_3)
	v_add_co_u32 v2, s0, s8, v70
	s_wait_alu 0xf1ff
	v_add_co_ci_u32_e64 v3, s0, s9, v71, s0
	v_lshlrev_b64_e32 v[0:1], 4, v[68:69]
	v_add3_u32 v64, 0, v149, v147
	s_delay_alu instid0(VALU_DEP_2) | instskip(SKIP_1) | instid1(VALU_DEP_3)
	v_add_co_u32 v60, s0, v2, v0
	s_wait_alu 0xf1ff
	v_add_co_ci_u32_e64 v61, s0, v3, v1, s0
	s_clause 0xf
	global_load_b128 v[0:3], v[60:61], off
	global_load_b128 v[4:7], v[60:61], off offset:544
	global_load_b128 v[8:11], v[60:61], off offset:1088
	;; [unrolled: 1-line block ×15, first 2 shown]
	s_wait_loadcnt 0xf
	ds_store_b128 v64, v[0:3]
	s_wait_loadcnt 0xe
	ds_store_b128 v64, v[4:7] offset:544
	s_wait_loadcnt 0xd
	ds_store_b128 v64, v[8:11] offset:1088
	;; [unrolled: 2-line block ×15, first 2 shown]
.LBB0_10:
	s_wait_alu 0xfffe
	s_or_b32 exec_lo, exec_lo, s1
	v_add_nc_u32_e32 v69, 0, v149
	v_add3_u32 v148, 0, v147, v149
	global_wb scope:SCOPE_SE
	s_wait_dscnt 0x0
	s_barrier_signal -1
	s_barrier_wait -1
	v_add_nc_u32_e32 v146, v69, v147
	global_inv scope:SCOPE_SE
	s_mov_b32 s33, exec_lo
	ds_load_b128 v[40:43], v148 offset:1024
	ds_load_b128 v[44:47], v148 offset:1536
	ds_load_b128 v[8:11], v146
	ds_load_b128 v[36:39], v148 offset:512
	ds_load_b128 v[48:51], v148 offset:2048
	;; [unrolled: 1-line block ×14, first 2 shown]
	global_wb scope:SCOPE_SE
	s_wait_dscnt 0x0
	s_barrier_signal -1
	s_barrier_wait -1
	global_inv scope:SCOPE_SE
	v_cmpx_gt_u32_e32 32, v68
	s_cbranch_execz .LBB0_12
; %bb.11:
	v_add_f64_e32 v[72:73], v[10:11], v[38:39]
	v_add_f64_e32 v[74:75], v[8:9], v[36:37]
	;; [unrolled: 1-line block ×3, first 2 shown]
	v_add_f64_e64 v[118:119], v[38:39], -v[2:3]
	s_mov_b32 s20, 0x7c9e640b
	s_mov_b32 s0, 0x6ed5f1bb
	;; [unrolled: 1-line block ×14, first 2 shown]
	s_wait_alu 0xfffe
	s_mov_b32 s42, s6
	s_mov_b32 s38, s28
	v_add_f64_e32 v[150:151], v[42:43], v[6:7]
	v_add_f64_e64 v[144:145], v[42:43], -v[6:7]
	s_mov_b32 s2, 0x75d4884
	s_mov_b32 s3, 0x3fe7a5f6
	v_add_f64_e32 v[78:79], v[62:63], v[34:35]
	v_add_f64_e64 v[80:81], v[62:63], -v[34:35]
	s_mov_b32 s14, 0x3259b75e
	s_mov_b32 s30, 0xeb564b22
	;; [unrolled: 1-line block ×12, first 2 shown]
	v_add_f64_e32 v[72:73], v[72:73], v[42:43]
	v_add_f64_e32 v[74:75], v[74:75], v[40:41]
	v_mul_f64_e32 v[106:107], s[12:13], v[104:105]
	v_mul_f64_e32 v[102:103], s[10:11], v[104:105]
	;; [unrolled: 1-line block ×5, first 2 shown]
	s_mov_b32 s51, 0x3feec746
	s_mov_b32 s17, 0x3fdc86fa
	;; [unrolled: 1-line block ×11, first 2 shown]
	s_wait_alu 0xfffe
	s_mov_b32 s34, s22
	v_add_f64_e32 v[84:85], v[66:67], v[30:31]
	v_add_f64_e32 v[142:143], v[46:47], v[14:15]
	v_mul_f64_e32 v[42:43], s[14:15], v[104:105]
	v_mul_f64_e32 v[38:39], s[16:17], v[104:105]
	v_mul_f64_e32 v[122:123], s[34:35], v[118:119]
	v_mul_f64_e32 v[114:115], s[52:53], v[118:119]
	v_mul_f64_e32 v[112:113], s[30:31], v[118:119]
	v_mul_f64_e32 v[108:109], s[26:27], v[118:119]
	v_mul_f64_e32 v[124:125], s[18:19], v[150:151]
	v_mul_f64_e32 v[132:133], s[16:17], v[150:151]
	v_mul_f64_e32 v[134:135], s[46:47], v[144:145]
	v_mul_f64_e32 v[138:139], s[44:45], v[150:151]
	v_mul_f64_e32 v[172:173], s[42:43], v[144:145]
	s_mov_b32 s41, 0x3fe58eea
	s_mov_b32 s40, s26
	v_add_f64_e32 v[88:89], v[58:59], v[26:27]
	v_add_f64_e64 v[82:83], v[56:57], -v[24:25]
	v_mul_f64_e32 v[176:177], s[14:15], v[150:151]
	s_mov_b32 s49, 0x3fefdd0d
	v_add_f64_e32 v[72:73], v[72:73], v[46:47]
	v_add_f64_e32 v[74:75], v[74:75], v[44:45]
	v_add_f64_e64 v[46:47], v[46:47], -v[14:15]
	s_mov_b32 s37, 0x3fd71e95
	s_mov_b32 s48, s30
	;; [unrolled: 1-line block ×3, first 2 shown]
	v_add_f64_e32 v[94:95], v[50:51], v[18:19]
	v_mul_f64_e32 v[156:157], s[10:11], v[150:151]
	v_mul_f64_e32 v[164:165], s[12:13], v[150:151]
	;; [unrolled: 1-line block ×4, first 2 shown]
	v_add_f64_e64 v[76:77], v[64:65], -v[28:29]
	v_add_f64_e32 v[92:93], v[54:55], v[22:23]
	v_add_f64_e64 v[86:87], v[52:53], -v[20:21]
	v_mul_f64_e32 v[126:127], s[36:37], v[144:145]
	v_mul_f64_e32 v[158:159], s[28:29], v[144:145]
	;; [unrolled: 1-line block ×4, first 2 shown]
	v_add_f64_e64 v[90:91], v[48:49], -v[16:17]
	v_mul_f64_e32 v[128:129], s[10:11], v[142:143]
	v_mul_f64_e32 v[136:137], s[14:15], v[142:143]
	;; [unrolled: 1-line block ×6, first 2 shown]
	v_add_f64_e32 v[72:73], v[72:73], v[50:51]
	v_add_f64_e32 v[74:75], v[74:75], v[48:49]
	v_add_f64_e64 v[50:51], v[50:51], -v[18:19]
	v_mul_f64_e32 v[130:131], s[30:31], v[46:47]
	v_add_f64_e32 v[48:49], v[48:49], v[16:17]
	v_mul_f64_e32 v[162:163], s[40:41], v[46:47]
	v_mul_f64_e32 v[188:189], s[2:3], v[94:95]
	;; [unrolled: 1-line block ×5, first 2 shown]
	v_add_f64_e32 v[72:73], v[72:73], v[54:55]
	v_add_f64_e32 v[74:75], v[74:75], v[52:53]
	;; [unrolled: 1-line block ×3, first 2 shown]
	v_add_f64_e64 v[54:55], v[54:55], -v[22:23]
	s_delay_alu instid0(VALU_DEP_4) | instskip(NEXT) | instid1(VALU_DEP_4)
	v_add_f64_e32 v[72:73], v[72:73], v[58:59]
	v_add_f64_e32 v[74:75], v[74:75], v[56:57]
	;; [unrolled: 1-line block ×3, first 2 shown]
	v_add_f64_e64 v[58:59], v[58:59], -v[26:27]
	s_delay_alu instid0(VALU_DEP_4) | instskip(NEXT) | instid1(VALU_DEP_4)
	v_add_f64_e32 v[96:97], v[72:73], v[66:67]
	v_add_f64_e32 v[98:99], v[74:75], v[64:65]
	v_add_f64_e64 v[72:73], v[60:61], -v[32:33]
	v_add_f64_e32 v[74:75], v[60:61], v[32:33]
	v_add_f64_e64 v[66:67], v[66:67], -v[30:31]
	v_add_f64_e32 v[64:65], v[64:65], v[28:29]
	v_add_f64_e32 v[100:101], v[96:97], v[62:63]
	;; [unrolled: 1-line block ×3, first 2 shown]
	v_add_f64_e64 v[96:97], v[36:37], -v[0:1]
	v_add_f64_e32 v[36:37], v[36:37], v[0:1]
	v_add_f64_e64 v[62:63], v[40:41], -v[4:5]
	v_add_f64_e32 v[40:41], v[40:41], v[4:5]
	;; [unrolled: 2-line block ×3, first 2 shown]
	v_add_f64_e32 v[140:141], v[100:101], v[34:35]
	v_add_f64_e32 v[152:153], v[98:99], v[32:33]
	v_mul_f64_e32 v[100:101], s[0:1], v[104:105]
	v_mul_f64_e32 v[34:35], s[2:3], v[104:105]
	;; [unrolled: 1-line block ×5, first 2 shown]
	v_fma_f64 v[190:191], v[96:97], s[22:23], v[106:107]
	v_fma_f64 v[106:107], v[96:97], s[34:35], v[106:107]
	;; [unrolled: 1-line block ×7, first 2 shown]
	v_fma_f64 v[110:111], v[36:37], s[16:17], -v[110:111]
	v_fma_f64 v[120:121], v[36:37], s[10:11], -v[120:121]
	v_fma_f64 v[198:199], v[96:97], s[48:49], v[42:43]
	v_fma_f64 v[42:43], v[96:97], s[30:31], v[42:43]
	;; [unrolled: 1-line block ×4, first 2 shown]
	v_fma_f64 v[116:117], v[36:37], s[0:1], -v[116:117]
	v_fma_f64 v[206:207], v[36:37], s[44:45], v[114:115]
	v_fma_f64 v[114:115], v[36:37], s[44:45], -v[114:115]
	v_fma_f64 v[208:209], v[36:37], s[14:15], v[112:113]
	;; [unrolled: 2-line block ×4, first 2 shown]
	v_fma_f64 v[222:223], v[40:41], s[16:17], v[134:135]
	v_fma_f64 v[132:133], v[62:63], s[46:47], v[132:133]
	;; [unrolled: 1-line block ×3, first 2 shown]
	v_fma_f64 v[242:243], v[40:41], s[0:1], -v[172:173]
	v_fma_f64 v[246:247], v[62:63], s[30:31], v[176:177]
	v_fma_f64 v[134:135], v[40:41], s[16:17], -v[134:135]
	v_fma_f64 v[218:219], v[60:61], s[28:29], v[128:129]
	v_fma_f64 v[128:129], v[60:61], s[38:39], v[128:129]
	;; [unrolled: 1-line block ×4, first 2 shown]
	v_add_f64_e32 v[154:155], v[140:141], v[30:31]
	v_add_f64_e32 v[152:153], v[152:153], v[28:29]
	v_mul_f64_e32 v[30:31], s[50:51], v[144:145]
	v_fma_f64 v[194:195], v[96:97], s[6:7], v[100:101]
	v_mul_f64_e32 v[140:141], s[18:19], v[142:143]
	v_fma_f64 v[100:101], v[96:97], s[42:43], v[100:101]
	v_fma_f64 v[196:197], v[96:97], s[50:51], v[98:99]
	;; [unrolled: 1-line block ×4, first 2 shown]
	v_add_f64_e32 v[190:191], v[10:11], v[190:191]
	v_add_f64_e32 v[106:107], v[10:11], v[106:107]
	;; [unrolled: 1-line block ×7, first 2 shown]
	v_mul_f64_e32 v[28:29], s[24:25], v[46:47]
	v_mul_f64_e32 v[142:143], s[16:17], v[142:143]
	;; [unrolled: 1-line block ×3, first 2 shown]
	v_add_f64_e32 v[120:121], v[8:9], v[120:121]
	v_fma_f64 v[138:139], v[62:63], s[50:51], v[138:139]
	v_fma_f64 v[240:241], v[62:63], s[42:43], v[170:171]
	;; [unrolled: 1-line block ×4, first 2 shown]
	v_add_f64_e32 v[116:117], v[8:9], v[116:117]
	v_add_f64_e32 v[198:199], v[10:11], v[198:199]
	;; [unrolled: 1-line block ×5, first 2 shown]
	v_mul_f64_e32 v[118:119], s[38:39], v[46:47]
	v_mul_f64_e32 v[46:47], s[20:21], v[46:47]
	v_fma_f64 v[216:217], v[40:41], s[18:19], v[126:127]
	v_fma_f64 v[232:233], v[60:61], s[40:41], v[160:161]
	;; [unrolled: 1-line block ×7, first 2 shown]
	v_add_f64_e32 v[26:27], v[154:155], v[26:27]
	v_add_f64_e32 v[24:25], v[152:153], v[24:25]
	v_fma_f64 v[152:153], v[96:97], s[40:41], v[34:35]
	v_fma_f64 v[34:35], v[96:97], s[26:27], v[34:35]
	;; [unrolled: 1-line block ×5, first 2 shown]
	v_fma_f64 v[122:123], v[36:37], s[12:13], -v[122:123]
	v_fma_f64 v[36:37], v[36:37], s[18:19], -v[104:105]
	v_fma_f64 v[104:105], v[62:63], s[24:25], v[124:125]
	v_fma_f64 v[124:125], v[62:63], s[36:37], v[124:125]
	v_fma_f64 v[228:229], v[40:41], s[44:45], v[30:31]
	v_add_f64_e32 v[194:195], v[10:11], v[194:195]
	v_fma_f64 v[230:231], v[60:61], s[36:37], v[140:141]
	v_add_f64_e32 v[100:101], v[10:11], v[100:101]
	v_add_f64_e32 v[196:197], v[10:11], v[196:197]
	;; [unrolled: 1-line block ×7, first 2 shown]
	v_mul_f64_e32 v[242:243], s[10:11], v[94:95]
	v_fma_f64 v[170:171], v[62:63], s[6:7], v[170:171]
	v_fma_f64 v[176:177], v[62:63], s[48:49], v[176:177]
	;; [unrolled: 1-line block ×6, first 2 shown]
	v_add_f64_e32 v[206:207], v[8:9], v[206:207]
	v_add_f64_e32 v[114:115], v[8:9], v[114:115]
	;; [unrolled: 1-line block ×8, first 2 shown]
	v_fma_f64 v[126:127], v[40:41], s[18:19], -v[126:127]
	v_fma_f64 v[130:131], v[44:45], s[14:15], -v[130:131]
	v_add_f64_e32 v[22:23], v[26:27], v[22:23]
	v_add_f64_e32 v[20:21], v[24:25], v[20:21]
	v_fma_f64 v[24:25], v[40:41], s[44:45], -v[30:31]
	v_add_f64_e32 v[34:35], v[10:11], v[34:35]
	v_add_f64_e32 v[152:153], v[10:11], v[152:153]
	;; [unrolled: 1-line block ×4, first 2 shown]
	v_fma_f64 v[26:27], v[60:61], s[24:25], v[140:141]
	v_fma_f64 v[30:31], v[62:63], s[28:29], v[156:157]
	v_add_f64_e32 v[104:105], v[104:105], v[190:191]
	v_add_f64_e32 v[106:107], v[124:125], v[106:107]
	;; [unrolled: 1-line block ×4, first 2 shown]
	v_mul_f64_e32 v[226:227], s[0:1], v[94:95]
	v_mul_f64_e32 v[228:229], s[6:7], v[50:51]
	v_fma_f64 v[156:157], v[62:63], s[38:39], v[156:157]
	v_fma_f64 v[62:63], v[62:63], s[40:41], v[150:151]
	;; [unrolled: 1-line block ×4, first 2 shown]
	v_fma_f64 v[142:143], v[40:41], s[2:3], -v[144:145]
	v_add_f64_e32 v[96:97], v[8:9], v[96:97]
	v_add_f64_e32 v[122:123], v[8:9], v[122:123]
	;; [unrolled: 1-line block ×4, first 2 shown]
	v_fma_f64 v[140:141], v[40:41], s[10:11], -v[158:159]
	v_mul_f64_e32 v[190:191], s[0:1], v[92:93]
	v_add_f64_e32 v[100:101], v[138:139], v[100:101]
	v_mul_f64_e32 v[138:139], s[18:19], v[92:93]
	v_add_f64_e32 v[38:39], v[240:241], v[38:39]
	v_add_f64_e32 v[192:193], v[224:225], v[192:193]
	;; [unrolled: 1-line block ×4, first 2 shown]
	v_fma_f64 v[236:237], v[40:41], s[12:13], -v[166:167]
	v_fma_f64 v[248:249], v[40:41], s[14:15], -v[178:179]
	v_fma_f64 v[158:159], v[40:41], s[10:11], v[158:159]
	v_fma_f64 v[166:167], v[40:41], s[12:13], v[166:167]
	;; [unrolled: 1-line block ×4, first 2 shown]
	v_add_f64_e32 v[18:19], v[22:23], v[18:19]
	v_add_f64_e32 v[16:17], v[20:21], v[16:17]
	v_fma_f64 v[20:21], v[44:45], s[18:19], v[28:29]
	v_add_f64_e32 v[34:35], v[246:247], v[34:35]
	v_mul_f64_e32 v[246:247], s[38:39], v[50:51]
	v_add_f64_e32 v[24:25], v[24:25], v[116:117]
	v_mul_f64_e32 v[116:117], s[24:25], v[54:55]
	;; [unrolled: 2-line block ×3, first 2 shown]
	v_add_f64_e32 v[104:105], v[218:219], v[104:105]
	v_fma_f64 v[218:219], v[90:91], s[26:27], v[188:189]
	v_add_f64_e32 v[106:107], v[128:129], v[106:107]
	v_fma_f64 v[188:189], v[90:91], s[40:41], v[188:189]
	v_fma_f64 v[224:225], v[90:91], s[42:43], v[226:227]
	;; [unrolled: 1-line block ×4, first 2 shown]
	v_add_f64_e32 v[194:195], v[230:231], v[194:195]
	v_fma_f64 v[230:231], v[90:91], s[28:29], v[242:243]
	v_fma_f64 v[40:41], v[40:41], s[2:3], v[144:145]
	;; [unrolled: 1-line block ×3, first 2 shown]
	v_fma_f64 v[118:119], v[44:45], s[10:11], -v[118:119]
	v_fma_f64 v[22:23], v[44:45], s[18:19], -v[28:29]
	;; [unrolled: 1-line block ×3, first 2 shown]
	v_fma_f64 v[162:163], v[44:45], s[2:3], v[162:163]
	v_fma_f64 v[32:33], v[44:45], s[44:45], -v[182:183]
	v_fma_f64 v[36:37], v[44:45], s[44:45], v[182:183]
	v_fma_f64 v[182:183], v[44:45], s[12:13], -v[184:185]
	v_fma_f64 v[184:185], v[44:45], s[12:13], v[184:185]
	v_add_f64_e32 v[96:97], v[216:217], v[96:97]
	v_add_f64_e32 v[8:9], v[142:143], v[8:9]
	v_mul_f64_e32 v[142:143], s[48:49], v[54:55]
	v_add_f64_e32 v[122:123], v[126:127], v[122:123]
	v_add_f64_e32 v[120:121], v[130:131], v[120:121]
	v_fma_f64 v[228:229], v[48:49], s[0:1], -v[228:229]
	v_mul_f64_e32 v[124:125], s[16:17], v[88:89]
	v_add_f64_e32 v[30:31], v[30:31], v[98:99]
	v_mul_f64_e32 v[98:99], s[12:13], v[88:89]
	v_add_f64_e32 v[114:115], v[140:141], v[114:115]
	v_add_f64_e32 v[14:15], v[18:19], v[14:15]
	;; [unrolled: 1-line block ×3, first 2 shown]
	v_fma_f64 v[16:17], v[44:45], s[0:1], -v[186:187]
	v_fma_f64 v[18:19], v[44:45], s[0:1], v[186:187]
	v_fma_f64 v[186:187], v[44:45], s[16:17], -v[46:47]
	v_fma_f64 v[44:45], v[44:45], s[16:17], v[46:47]
	v_mul_f64_e32 v[46:47], s[40:41], v[50:51]
	v_add_f64_e32 v[20:21], v[20:21], v[204:205]
	v_fma_f64 v[204:205], v[48:49], s[10:11], v[246:247]
	v_mul_f64_e32 v[140:141], s[34:35], v[58:59]
	v_add_f64_e32 v[156:157], v[156:157], v[196:197]
	v_mul_f64_e32 v[196:197], s[2:3], v[88:89]
	v_add_f64_e32 v[104:105], v[218:219], v[104:105]
	v_fma_f64 v[218:219], v[86:87], s[6:7], v[190:191]
	v_add_f64_e32 v[106:107], v[188:189], v[106:107]
	v_fma_f64 v[190:191], v[86:87], s[42:43], v[190:191]
	;; [unrolled: 2-line block ×4, first 2 shown]
	v_add_f64_e32 v[202:203], v[254:255], v[202:203]
	v_add_f64_e32 v[102:103], v[226:227], v[102:103]
	v_fma_f64 v[138:139], v[86:87], s[24:25], v[138:139]
	v_add_f64_e32 v[194:195], v[230:231], v[194:195]
	v_fma_f64 v[230:231], v[86:87], s[30:31], v[252:253]
	v_mul_f64_e32 v[216:217], s[42:43], v[54:55]
	v_add_f64_e32 v[112:113], v[236:237], v[112:113]
	v_add_f64_e32 v[166:167], v[166:167], v[208:209]
	v_mul_f64_e32 v[208:209], s[26:27], v[58:59]
	v_add_f64_e32 v[96:97], v[144:145], v[96:97]
	v_add_f64_e32 v[26:27], v[26:27], v[100:101]
	v_fma_f64 v[242:243], v[90:91], s[38:39], v[242:243]
	v_add_f64_e32 v[22:23], v[22:23], v[24:25]
	v_fma_f64 v[246:247], v[48:49], s[10:11], -v[246:247]
	v_add_f64_e32 v[164:165], v[164:165], v[198:199]
	v_mul_f64_e32 v[198:199], s[20:21], v[50:51]
	v_add_f64_e32 v[118:119], v[118:119], v[122:123]
	v_add_f64_e32 v[120:121], v[228:229], v[120:121]
	v_fma_f64 v[116:117], v[52:53], s[18:19], -v[116:117]
	v_mul_f64_e32 v[220:221], s[44:45], v[84:85]
	v_mul_f64_e32 v[236:237], s[40:41], v[66:67]
	v_add_f64_e32 v[170:171], v[170:171], v[200:201]
	v_mul_f64_e32 v[200:201], s[12:13], v[84:85]
	v_add_f64_e32 v[158:159], v[158:159], v[206:207]
	v_fma_f64 v[144:145], v[48:49], s[2:3], v[46:47]
	v_fma_f64 v[46:47], v[48:49], s[2:3], -v[46:47]
	v_add_f64_e32 v[20:21], v[204:205], v[20:21]
	v_fma_f64 v[204:205], v[52:53], s[14:15], v[142:143]
	v_mul_f64_e32 v[206:207], s[16:17], v[94:95]
	v_mul_f64_e32 v[100:101], s[18:19], v[94:95]
	;; [unrolled: 1-line block ×3, first 2 shown]
	v_add_f64_e32 v[104:105], v[218:219], v[104:105]
	v_fma_f64 v[218:219], v[82:83], s[20:21], v[124:125]
	v_add_f64_e32 v[106:107], v[190:191], v[106:107]
	v_fma_f64 v[124:125], v[82:83], s[46:47], v[124:125]
	v_mul_f64_e32 v[254:255], s[50:51], v[50:51]
	v_add_f64_e32 v[192:193], v[244:245], v[192:193]
	v_fma_f64 v[244:245], v[82:83], s[22:23], v[98:99]
	v_add_f64_e32 v[202:203], v[224:225], v[202:203]
	v_fma_f64 v[224:225], v[56:57], s[12:13], v[140:141]
	;; [unrolled: 2-line block ×4, first 2 shown]
	v_add_f64_e32 v[32:33], v[32:33], v[112:113]
	v_mul_f64_e32 v[112:113], s[44:45], v[94:95]
	v_add_f64_e32 v[110:111], v[182:183], v[110:111]
	v_fma_f64 v[182:183], v[56:57], s[2:3], v[208:209]
	v_mul_f64_e32 v[126:127], s[46:47], v[58:59]
	v_add_f64_e32 v[26:27], v[242:243], v[26:27]
	v_mul_f64_e32 v[242:243], s[12:13], v[94:95]
	v_add_f64_e32 v[22:23], v[246:247], v[22:23]
	v_mul_f64_e32 v[246:247], s[34:35], v[50:51]
	v_mul_f64_e32 v[94:95], s[14:15], v[94:95]
	;; [unrolled: 1-line block ×3, first 2 shown]
	v_add_f64_e32 v[42:43], v[234:235], v[42:43]
	v_add_f64_e32 v[108:109], v[248:249], v[108:109]
	;; [unrolled: 1-line block ×3, first 2 shown]
	v_mul_f64_e32 v[212:213], s[34:35], v[54:55]
	v_add_f64_e32 v[28:29], v[28:29], v[114:115]
	v_fma_f64 v[114:115], v[48:49], s[16:17], -v[198:199]
	v_fma_f64 v[140:141], v[56:57], s[12:13], -v[140:141]
	v_add_f64_e32 v[96:97], v[144:145], v[96:97]
	v_fma_f64 v[144:145], v[52:53], s[0:1], v[216:217]
	v_add_f64_e32 v[46:47], v[46:47], v[118:119]
	v_add_f64_e32 v[20:21], v[204:205], v[20:21]
	v_fma_f64 v[216:217], v[52:53], s[0:1], -v[216:217]
	v_add_f64_e32 v[116:117], v[116:117], v[120:121]
	v_add_f64_e32 v[152:153], v[176:177], v[152:153]
	v_fma_f64 v[120:121], v[76:77], s[50:51], v[220:221]
	v_add_f64_e32 v[104:105], v[218:219], v[104:105]
	v_add_f64_e32 v[172:173], v[172:173], v[210:211]
	;; [unrolled: 1-line block ×3, first 2 shown]
	v_fma_f64 v[124:125], v[64:65], s[2:3], v[236:237]
	v_add_f64_e32 v[62:63], v[62:63], v[154:155]
	v_add_f64_e32 v[192:193], v[244:245], v[192:193]
	v_fma_f64 v[244:245], v[76:77], s[22:23], v[200:201]
	v_add_f64_e32 v[202:203], v[224:225], v[202:203]
	v_add_f64_e32 v[40:41], v[40:41], v[214:215]
	v_mul_f64_e32 v[122:123], s[12:13], v[92:93]
	v_add_f64_e32 v[138:139], v[138:139], v[194:195]
	v_mul_f64_e32 v[188:189], s[16:17], v[92:93]
	v_mul_f64_e32 v[118:119], s[20:21], v[54:55]
	;; [unrolled: 1-line block ×6, first 2 shown]
	v_add_f64_e32 v[26:27], v[252:253], v[26:27]
	v_fma_f64 v[252:253], v[48:49], s[18:19], -v[24:25]
	v_fma_f64 v[194:195], v[48:49], s[44:45], -v[254:255]
	v_add_f64_e32 v[34:35], v[250:251], v[34:35]
	v_add_f64_e32 v[10:11], v[150:151], v[10:11]
	;; [unrolled: 1-line block ×3, first 2 shown]
	v_fma_f64 v[186:187], v[90:91], s[30:31], v[94:95]
	v_add_f64_e32 v[156:157], v[160:161], v[156:157]
	v_fma_f64 v[160:161], v[48:49], s[14:15], -v[50:51]
	v_mul_f64_e32 v[234:235], s[2:3], v[84:85]
	v_mul_f64_e32 v[214:215], s[48:49], v[58:59]
	v_add_f64_e32 v[30:31], v[232:233], v[30:31]
	v_fma_f64 v[232:233], v[90:91], s[20:21], v[206:207]
	v_add_f64_e32 v[42:43], v[238:239], v[42:43]
	v_add_f64_e32 v[96:97], v[144:145], v[96:97]
	v_mul_f64_e32 v[144:145], s[10:11], v[92:93]
	v_mul_f64_e32 v[92:93], s[44:45], v[92:93]
	v_add_f64_e32 v[20:21], v[182:183], v[20:21]
	v_fma_f64 v[182:183], v[90:91], s[34:35], v[242:243]
	v_add_f64_e32 v[28:29], v[114:115], v[28:29]
	v_fma_f64 v[114:115], v[52:53], s[12:13], -v[212:213]
	v_add_f64_e32 v[46:47], v[216:217], v[46:47]
	v_fma_f64 v[216:217], v[56:57], s[16:17], v[126:127]
	v_fma_f64 v[204:205], v[90:91], s[36:37], v[100:101]
	v_add_f64_e32 v[116:117], v[140:141], v[116:117]
	v_fma_f64 v[140:141], v[90:91], s[50:51], v[112:113]
	v_fma_f64 v[250:251], v[48:49], s[12:13], -v[246:247]
	v_add_f64_e32 v[16:17], v[16:17], v[108:109]
	v_fma_f64 v[206:207], v[90:91], s[46:47], v[206:207]
	v_fma_f64 v[198:199], v[48:49], s[16:17], v[198:199]
	v_fma_f64 v[24:25], v[48:49], s[18:19], v[24:25]
	v_fma_f64 v[112:113], v[90:91], s[52:53], v[112:113]
	v_add_f64_e32 v[158:159], v[162:163], v[158:159]
	v_add_f64_e32 v[162:163], v[168:169], v[164:165]
	;; [unrolled: 1-line block ×10, first 2 shown]
	v_fma_f64 v[14:15], v[90:91], s[22:23], v[242:243]
	v_add_f64_e32 v[18:19], v[18:19], v[178:179]
	v_fma_f64 v[138:139], v[48:49], s[12:13], v[246:247]
	v_fma_f64 v[100:101], v[90:91], s[24:25], v[100:101]
	;; [unrolled: 1-line block ×3, first 2 shown]
	v_add_f64_e32 v[166:167], v[184:185], v[172:173]
	v_fma_f64 v[142:143], v[52:53], s[14:15], -v[142:143]
	v_fma_f64 v[90:91], v[90:91], s[48:49], v[94:95]
	v_add_f64_e32 v[60:61], v[60:61], v[62:63]
	v_fma_f64 v[48:49], v[48:49], s[14:15], v[50:51]
	v_add_f64_e32 v[40:41], v[44:45], v[40:41]
	v_mul_f64_e32 v[154:155], s[14:15], v[88:89]
	v_mul_f64_e32 v[238:239], s[10:11], v[88:89]
	v_fma_f64 v[150:151], v[52:53], s[16:17], -v[118:119]
	v_add_f64_e32 v[32:33], v[252:253], v[32:33]
	v_mul_f64_e32 v[152:153], s[38:39], v[58:59]
	v_add_f64_e32 v[110:111], v[194:195], v[110:111]
	v_fma_f64 v[168:169], v[52:53], s[2:3], -v[228:229]
	v_mul_f64_e32 v[170:171], s[18:19], v[88:89]
	v_mul_f64_e32 v[172:173], s[24:25], v[58:59]
	v_add_f64_e32 v[34:35], v[182:183], v[34:35]
	v_mul_f64_e32 v[180:181], s[44:45], v[88:89]
	v_mul_f64_e32 v[182:183], s[50:51], v[58:59]
	v_add_f64_e32 v[10:11], v[186:187], v[10:11]
	v_fma_f64 v[184:185], v[86:87], s[52:53], v[92:93]
	v_mul_f64_e32 v[88:89], s[0:1], v[88:89]
	v_add_f64_e32 v[8:9], v[160:161], v[8:9]
	v_fma_f64 v[160:161], v[52:53], s[44:45], -v[54:55]
	v_mul_f64_e32 v[58:59], s[42:43], v[58:59]
	v_add_f64_e32 v[30:31], v[232:233], v[30:31]
	v_fma_f64 v[232:233], v[86:87], s[34:35], v[122:123]
	v_add_f64_e32 v[28:29], v[114:115], v[28:29]
	v_fma_f64 v[114:115], v[56:57], s[14:15], -v[214:215]
	v_add_f64_e32 v[96:97], v[216:217], v[96:97]
	v_fma_f64 v[216:217], v[76:77], s[26:27], v[234:235]
	v_fma_f64 v[108:109], v[86:87], s[20:21], v[188:189]
	v_add_f64_e32 v[42:43], v[204:205], v[42:43]
	v_add_f64_e32 v[38:39], v[140:141], v[38:39]
	v_fma_f64 v[140:141], v[86:87], s[40:41], v[226:227]
	v_add_f64_e32 v[16:17], v[250:251], v[16:17]
	v_fma_f64 v[174:175], v[86:87], s[28:29], v[144:145]
	v_fma_f64 v[178:179], v[52:53], s[10:11], -v[190:191]
	v_add_f64_e32 v[156:157], v[206:207], v[156:157]
	v_fma_f64 v[122:123], v[86:87], s[22:23], v[122:123]
	v_add_f64_e32 v[158:159], v[198:199], v[158:159]
	v_fma_f64 v[186:187], v[52:53], s[12:13], v[212:213]
	;; [unrolled: 2-line block ×8, first 2 shown]
	v_mul_f64_e32 v[210:211], s[34:35], v[66:67]
	v_add_f64_e32 v[22:23], v[142:143], v[22:23]
	v_fma_f64 v[208:209], v[56:57], s[2:3], -v[208:209]
	v_fma_f64 v[86:87], v[86:87], s[50:51], v[92:93]
	v_add_f64_e32 v[60:61], v[90:91], v[60:61]
	v_fma_f64 v[52:53], v[52:53], s[44:45], v[54:55]
	v_add_f64_e32 v[40:41], v[48:49], v[40:41]
	v_mul_f64_e32 v[222:223], s[52:53], v[66:67]
	v_mul_f64_e32 v[136:137], s[18:19], v[84:85]
	;; [unrolled: 1-line block ×3, first 2 shown]
	v_fma_f64 v[126:127], v[56:57], s[16:17], -v[126:127]
	v_add_f64_e32 v[32:33], v[150:151], v[32:33]
	v_fma_f64 v[150:151], v[56:57], s[10:11], -v[152:153]
	v_mul_f64_e32 v[162:163], s[0:1], v[84:85]
	v_mul_f64_e32 v[164:165], s[6:7], v[66:67]
	v_add_f64_e32 v[110:111], v[168:169], v[110:111]
	v_fma_f64 v[166:167], v[56:57], s[18:19], -v[172:173]
	v_mul_f64_e32 v[168:169], s[14:15], v[84:85]
	v_mul_f64_e32 v[188:189], s[30:31], v[66:67]
	;; [unrolled: 1-line block ×3, first 2 shown]
	v_add_f64_e32 v[10:11], v[184:185], v[10:11]
	v_fma_f64 v[184:185], v[82:83], s[42:43], v[88:89]
	v_mul_f64_e32 v[84:85], s[10:11], v[84:85]
	v_add_f64_e32 v[8:9], v[160:161], v[8:9]
	v_fma_f64 v[48:49], v[56:57], s[0:1], -v[58:59]
	v_mul_f64_e32 v[54:55], s[38:39], v[66:67]
	v_add_f64_e32 v[30:31], v[232:233], v[30:31]
	v_fma_f64 v[232:233], v[82:83], s[48:49], v[154:155]
	v_add_f64_e32 v[28:29], v[114:115], v[28:29]
	v_add_f64_e32 v[114:115], v[216:217], v[192:193]
	v_add_f64_e32 v[42:43], v[108:109], v[42:43]
	v_fma_f64 v[108:109], v[82:83], s[38:39], v[238:239]
	v_add_f64_e32 v[38:39], v[140:141], v[38:39]
	v_fma_f64 v[140:141], v[82:83], s[24:25], v[170:171]
	v_add_f64_e32 v[34:35], v[174:175], v[34:35]
	v_add_f64_e32 v[16:17], v[178:179], v[16:17]
	v_fma_f64 v[174:175], v[82:83], s[50:51], v[180:181]
	v_fma_f64 v[178:179], v[56:57], s[44:45], -v[182:183]
	v_mul_f64_e32 v[192:193], s[46:47], v[66:67]
	v_fma_f64 v[196:197], v[82:83], s[26:27], v[196:197]
	v_fma_f64 v[98:99], v[82:83], s[34:35], v[98:99]
	v_add_f64_e32 v[66:67], v[122:123], v[156:157]
	v_add_f64_e32 v[90:91], v[186:187], v[158:159]
	;; [unrolled: 1-line block ×6, first 2 shown]
	v_fma_f64 v[18:19], v[82:83], s[30:31], v[154:155]
	v_fma_f64 v[50:51], v[56:57], s[14:15], v[214:215]
	v_add_f64_e32 v[62:63], v[62:63], v[100:101]
	v_add_f64_e32 v[44:45], v[112:113], v[94:95]
	v_fma_f64 v[92:93], v[82:83], s[28:29], v[238:239]
	v_fma_f64 v[94:95], v[56:57], s[10:11], v[152:153]
	;; [unrolled: 1-line block ×7, first 2 shown]
	v_fma_f64 v[210:211], v[64:65], s[12:13], -v[210:211]
	v_add_f64_e32 v[22:23], v[208:209], v[22:23]
	v_fma_f64 v[82:83], v[82:83], s[6:7], v[88:89]
	v_add_f64_e32 v[60:61], v[86:87], v[60:61]
	v_fma_f64 v[56:57], v[56:57], s[0:1], v[58:59]
	v_add_f64_e32 v[40:41], v[52:53], v[40:41]
	v_mul_f64_e32 v[132:133], s[14:15], v[78:79]
	v_mul_f64_e32 v[134:135], s[48:49], v[80:81]
	;; [unrolled: 1-line block ×6, first 2 shown]
	v_fma_f64 v[230:231], v[64:65], s[44:45], v[222:223]
	v_fma_f64 v[222:223], v[64:65], s[44:45], -v[222:223]
	v_add_f64_e32 v[46:47], v[126:127], v[46:47]
	v_fma_f64 v[144:145], v[64:65], s[18:19], -v[130:131]
	v_mul_f64_e32 v[152:153], s[0:1], v[78:79]
	v_mul_f64_e32 v[154:155], s[42:43], v[80:81]
	v_add_f64_e32 v[32:33], v[150:151], v[32:33]
	v_fma_f64 v[150:151], v[64:65], s[0:1], -v[164:165]
	v_mul_f64_e32 v[156:157], s[2:3], v[78:79]
	v_mul_f64_e32 v[158:159], s[40:41], v[80:81]
	;; [unrolled: 4-line block ×3, first 2 shown]
	v_mul_f64_e32 v[86:87], s[18:19], v[78:79]
	v_mul_f64_e32 v[88:89], s[36:37], v[80:81]
	v_add_f64_e32 v[10:11], v[184:185], v[10:11]
	v_fma_f64 v[172:173], v[76:77], s[38:39], v[84:85]
	v_add_f64_e32 v[8:9], v[48:49], v[8:9]
	v_fma_f64 v[48:49], v[64:65], s[10:11], -v[54:55]
	v_mul_f64_e32 v[78:79], s[12:13], v[78:79]
	v_mul_f64_e32 v[80:81], s[34:35], v[80:81]
	v_add_f64_e32 v[30:31], v[232:233], v[30:31]
	v_fma_f64 v[138:139], v[76:77], s[24:25], v[136:137]
	v_add_f64_e32 v[42:43], v[108:109], v[42:43]
	v_fma_f64 v[108:109], v[76:77], s[6:7], v[162:163]
	;; [unrolled: 2-line block ×3, first 2 shown]
	v_add_f64_e32 v[34:35], v[174:175], v[34:35]
	v_add_f64_e32 v[16:17], v[178:179], v[16:17]
	v_fma_f64 v[52:53], v[76:77], s[46:47], v[190:191]
	v_fma_f64 v[58:59], v[64:65], s[16:17], -v[192:193]
	v_fma_f64 v[200:201], v[76:77], s[34:35], v[200:201]
	v_add_f64_e32 v[26:27], v[196:197], v[26:27]
	v_fma_f64 v[234:235], v[76:77], s[40:41], v[234:235]
	v_fma_f64 v[236:237], v[64:65], s[2:3], -v[236:237]
	v_add_f64_e32 v[98:99], v[98:99], v[102:103]
	v_fma_f64 v[220:221], v[76:77], s[52:53], v[220:221]
	v_add_f64_e32 v[18:19], v[18:19], v[66:67]
	v_add_f64_e32 v[50:51], v[50:51], v[90:91]
	v_fma_f64 v[66:67], v[76:77], s[36:37], v[136:137]
	v_fma_f64 v[90:91], v[64:65], s[18:19], v[130:131]
	v_add_f64_e32 v[62:63], v[92:93], v[62:63]
	v_add_f64_e32 v[24:25], v[94:95], v[24:25]
	;; [unrolled: 1-line block ×6, first 2 shown]
	v_fma_f64 v[92:93], v[76:77], s[42:43], v[162:163]
	v_fma_f64 v[94:95], v[64:65], s[0:1], v[164:165]
	;; [unrolled: 1-line block ×6, first 2 shown]
	v_add_f64_e32 v[162:163], v[210:211], v[22:23]
	v_fma_f64 v[22:23], v[76:77], s[28:29], v[84:85]
	v_add_f64_e32 v[60:61], v[82:83], v[60:61]
	v_fma_f64 v[54:55], v[64:65], s[10:11], v[54:55]
	;; [unrolled: 2-line block ×3, first 2 shown]
	v_fma_f64 v[134:135], v[74:75], s[14:15], -v[134:135]
	v_add_f64_e32 v[46:47], v[222:223], v[46:47]
	v_add_f64_e32 v[28:29], v[144:145], v[28:29]
	;; [unrolled: 1-line block ×6, first 2 shown]
	v_fma_f64 v[150:151], v[72:73], s[34:35], v[78:79]
	v_fma_f64 v[160:161], v[74:75], s[12:13], -v[80:81]
	v_add_f64_e32 v[30:31], v[138:139], v[30:31]
	v_add_f64_e32 v[42:43], v[108:109], v[42:43]
	v_fma_f64 v[76:77], v[72:73], s[40:41], v[156:157]
	v_add_f64_e32 v[38:39], v[140:141], v[38:39]
	v_add_f64_e32 v[52:53], v[52:53], v[34:35]
	;; [unrolled: 1-line block ×3, first 2 shown]
	v_fma_f64 v[138:139], v[72:73], s[36:37], v[86:87]
	v_fma_f64 v[140:141], v[74:75], s[18:19], -v[88:89]
	v_fma_f64 v[108:109], v[72:73], s[38:39], v[166:167]
	v_fma_f64 v[110:111], v[74:75], s[10:11], -v[170:171]
	v_fma_f64 v[82:83], v[74:75], s[2:3], -v[158:159]
	v_fma_f64 v[56:57], v[72:73], s[42:43], v[152:153]
	v_fma_f64 v[64:65], v[74:75], s[0:1], -v[154:155]
	v_fma_f64 v[136:137], v[74:75], s[16:17], v[128:129]
	v_add_f64_e32 v[26:27], v[200:201], v[26:27]
	v_fma_f64 v[164:165], v[72:73], s[46:47], v[176:177]
	v_fma_f64 v[128:129], v[74:75], s[16:17], -v[128:129]
	v_fma_f64 v[126:127], v[72:73], s[50:51], v[240:241]
	v_fma_f64 v[102:103], v[74:75], s[44:45], v[248:249]
	;; [unrolled: 1-line block ×3, first 2 shown]
	v_fma_f64 v[248:249], v[74:75], s[44:45], -v[248:249]
	v_add_f64_e32 v[98:99], v[234:235], v[98:99]
	v_add_f64_e32 v[116:117], v[236:237], v[116:117]
	v_fma_f64 v[142:143], v[72:73], s[30:31], v[132:133]
	v_fma_f64 v[132:133], v[72:73], s[48:49], v[132:133]
	v_add_f64_e32 v[106:107], v[220:221], v[106:107]
	v_add_f64_e32 v[96:97], v[230:231], v[96:97]
	;; [unrolled: 1-line block ×3, first 2 shown]
	v_fma_f64 v[130:131], v[72:73], s[20:21], v[176:177]
	v_add_f64_e32 v[66:67], v[66:67], v[18:19]
	v_add_f64_e32 v[90:91], v[90:91], v[50:51]
	v_fma_f64 v[50:51], v[72:73], s[6:7], v[152:153]
	v_fma_f64 v[154:155], v[74:75], s[0:1], v[154:155]
	v_add_f64_e32 v[62:63], v[92:93], v[62:63]
	v_add_f64_e32 v[92:93], v[94:95], v[24:25]
	;; [unrolled: 1-line block ×6, first 2 shown]
	v_fma_f64 v[122:123], v[72:73], s[26:27], v[156:157]
	v_fma_f64 v[156:157], v[74:75], s[2:3], v[158:159]
	;; [unrolled: 1-line block ×6, first 2 shown]
	v_add_f64_e32 v[158:159], v[22:23], v[60:61]
	v_fma_f64 v[60:61], v[74:75], s[18:19], v[88:89]
	v_fma_f64 v[74:75], v[74:75], s[12:13], v[80:81]
	v_add_f64_e32 v[80:81], v[54:55], v[40:41]
	v_add_f64_e32 v[2:3], v[6:7], v[2:3]
	;; [unrolled: 1-line block ×34, first 2 shown]
	v_mul_u32_u24_e32 v72, 0x110, v68
	v_add_f64_e32 v[64:65], v[74:75], v[80:81]
	s_delay_alu instid0(VALU_DEP_2)
	v_add3_u32 v72, 0, v72, v149
	ds_store_b128 v72, v[0:3]
	ds_store_b128 v72, v[44:47] offset:16
	ds_store_b128 v72, v[40:43] offset:32
	;; [unrolled: 1-line block ×16, first 2 shown]
.LBB0_12:
	s_or_b32 exec_lo, exec_lo, s33
	v_add_nc_u16 v2, v68, 34
	v_add_nc_u16 v5, v68, 0x44
	;; [unrolled: 1-line block ×5, first 2 shown]
	v_and_b32_e32 v0, 0xff, v2
	v_dual_mov_b32 v4, 0 :: v_dual_and_b32 v1, 0xff, v5
	v_and_b32_e32 v9, 0xff, v14
	v_add_nc_u16 v17, v68, 0xcc
	s_delay_alu instid0(VALU_DEP_4) | instskip(NEXT) | instid1(VALU_DEP_4)
	v_mul_lo_u16 v0, 0xf1, v0
	v_mul_lo_u16 v3, 0xf1, v1
	v_add_nc_u32_e32 v13, 0xee, v68
	v_and_b32_e32 v18, 0xff, v16
	v_mul_lo_u16 v19, 0xf1, v9
	v_lshrrev_b16 v1, 12, v0
	v_lshrrev_b16 v0, 12, v3
	v_subrev_nc_u32_e32 v6, 17, v68
	v_cmp_gt_u32_e64 s0, 17, v68
	v_and_b32_e32 v21, 0xff, v17
	v_mul_lo_u16 v7, v1, 17
	v_mul_lo_u16 v8, v0, 17
	v_and_b32_e32 v22, 0xffff, v13
	v_lshrrev_b16 v90, 12, v19
	v_mul_lo_u16 v18, 0xf1, v18
	v_sub_nc_u16 v2, v2, v7
	v_sub_nc_u16 v7, v5, v8
	v_and_b32_e32 v8, 0xff, v15
	s_wait_alu 0xf1ff
	v_cndmask_b32_e64 v3, v6, v68, s0
	v_mul_lo_u16 v19, 0xf1, v21
	v_mul_lo_u16 v21, v90, 17
	v_lshrrev_b16 v92, 12, v18
	v_mul_lo_u16 v20, 0xf1, v8
	v_lshlrev_b64_e32 v[5:6], 4, v[3:4]
	v_lshrrev_b16 v93, 12, v19
	v_sub_nc_u16 v14, v14, v21
	v_mul_lo_u16 v19, v92, 17
	v_lshrrev_b16 v91, 12, v20
	v_mul_u32_u24_e32 v20, 0xf0f1, v22
	v_and_b32_e32 v2, 0xff, v2
	v_and_b32_e32 v7, 0xff, v7
	v_add_co_u32 v5, s0, s4, v5
	v_mul_lo_u16 v18, v91, 17
	v_lshrrev_b32_e32 v94, 20, v20
	s_wait_alu 0xf1ff
	v_add_co_ci_u32_e64 v6, s0, s5, v6, s0
	v_and_b32_e32 v14, 0xff, v14
	v_sub_nc_u16 v15, v15, v18
	v_mul_lo_u16 v18, v93, 17
	v_mul_lo_u16 v20, v94, 17
	v_sub_nc_u16 v16, v16, v19
	v_lshlrev_b32_e32 v2, 4, v2
	v_and_b32_e32 v15, 0xff, v15
	v_sub_nc_u16 v17, v17, v18
	v_lshlrev_b32_e32 v67, 4, v7
	v_sub_nc_u16 v13, v13, v20
	global_wb scope:SCOPE_SE
	s_wait_dscnt 0x0
	s_barrier_signal -1
	s_barrier_wait -1
	global_inv scope:SCOPE_SE
	s_clause 0x1
	global_load_b128 v[5:8], v[5:6], off
	global_load_b128 v[9:12], v2, s[4:5]
	v_lshlrev_b32_e32 v95, 4, v14
	v_and_b32_e32 v18, 0xff, v16
	v_lshlrev_b32_e32 v96, 4, v15
	v_and_b32_e32 v21, 0xff, v17
	v_and_b32_e32 v25, 0xffff, v13
	global_load_b128 v[13:16], v67, s[4:5]
	v_lshlrev_b32_e32 v97, 4, v18
	global_load_b128 v[17:20], v95, s[4:5]
	v_lshlrev_b32_e32 v98, 4, v21
	;; [unrolled: 2-line block ×3, first 2 shown]
	s_clause 0x2
	global_load_b128 v[25:28], v97, s[4:5]
	global_load_b128 v[29:32], v98, s[4:5]
	;; [unrolled: 1-line block ×3, first 2 shown]
	ds_load_b128 v[37:40], v148 offset:4352
	ds_load_b128 v[41:44], v148 offset:4896
	;; [unrolled: 1-line block ×8, first 2 shown]
	v_cmp_lt_u32_e64 s0, 16, v68
	v_lshlrev_b32_e32 v3, 4, v3
	v_and_b32_e32 v1, 0xffff, v1
	v_and_b32_e32 v0, 0xffff, v0
	s_mov_b32 s3, 0x3fe6a09e
	s_mov_b32 s6, 0xcf328d46
	;; [unrolled: 1-line block ×3, first 2 shown]
	v_mad_u32_u24 v1, 0x220, v1, 0
	v_mad_u32_u24 v0, 0x220, v0, 0
	s_mov_b32 s15, 0x3fed906b
	s_wait_alu 0xfffe
	s_mov_b32 s14, s6
	s_mov_b32 s10, 0xa6aea964
	v_add3_u32 v1, v1, v2, v149
	v_add3_u32 v0, v0, v67, v149
	s_mov_b32 s11, 0xbfd87de2
	s_mov_b32 s13, 0x3fd87de2
	s_wait_alu 0xfffe
	s_mov_b32 s12, s10
	s_wait_loadcnt_dscnt 0x707
	v_mul_f64_e32 v[65:66], v[39:40], v[7:8]
	v_mul_f64_e32 v[7:8], v[37:38], v[7:8]
	s_wait_loadcnt_dscnt 0x606
	v_mul_f64_e32 v[76:77], v[43:44], v[11:12]
	v_mul_f64_e32 v[11:12], v[41:42], v[11:12]
	;; [unrolled: 3-line block ×8, first 2 shown]
	v_fma_f64 v[37:38], v[37:38], v[5:6], -v[65:66]
	v_fma_f64 v[39:40], v[39:40], v[5:6], v[7:8]
	v_fma_f64 v[41:42], v[41:42], v[9:10], -v[76:77]
	v_fma_f64 v[43:44], v[43:44], v[9:10], v[11:12]
	v_and_b32_e32 v76, 0xffff, v91
	v_and_b32_e32 v77, 0xffff, v92
	v_fma_f64 v[45:46], v[45:46], v[13:14], -v[78:79]
	v_fma_f64 v[47:48], v[47:48], v[13:14], v[15:16]
	v_fma_f64 v[49:50], v[49:50], v[17:18], -v[80:81]
	v_fma_f64 v[51:52], v[51:52], v[17:18], v[19:20]
	;; [unrolled: 2-line block ×6, first 2 shown]
	ds_load_b128 v[5:8], v146
	ds_load_b128 v[9:12], v148 offset:544
	ds_load_b128 v[13:16], v148 offset:1088
	;; [unrolled: 1-line block ×7, first 2 shown]
	v_and_b32_e32 v78, 0xffff, v93
	v_mad_u32_u24 v79, 0x220, v94, 0
	v_mad_u32_u24 v76, 0x220, v76, 0
	;; [unrolled: 1-line block ×3, first 2 shown]
	global_wb scope:SCOPE_SE
	s_wait_dscnt 0x0
	v_mad_u32_u24 v78, 0x220, v78, 0
	s_barrier_signal -1
	s_barrier_wait -1
	global_inv scope:SCOPE_SE
	v_add3_u32 v67, v77, v97, v149
	v_add3_u32 v77, v79, v99, v149
	v_add_f64_e64 v[37:38], v[5:6], -v[37:38]
	v_add_f64_e64 v[39:40], v[7:8], -v[39:40]
	;; [unrolled: 1-line block ×16, first 2 shown]
	v_cndmask_b32_e64 v65, 0, 0x220, s0
	v_mul_u32_u24_e32 v66, 15, v68
	s_mov_b32 s0, 0x667f3bcd
	s_mov_b32 s1, 0xbfe6a09e
	s_wait_alu 0xfffe
	s_mov_b32 s2, s0
	v_add_nc_u32_e32 v65, 0, v65
	v_lshlrev_b32_e32 v66, 4, v66
	s_delay_alu instid0(VALU_DEP_2) | instskip(SKIP_1) | instid1(VALU_DEP_1)
	v_add3_u32 v3, v65, v3, v149
	v_and_b32_e32 v65, 0xffff, v90
	v_mad_u32_u24 v65, 0x220, v65, 0
	v_fma_f64 v[5:6], v[5:6], 2.0, -v[37:38]
	v_fma_f64 v[7:8], v[7:8], 2.0, -v[39:40]
	;; [unrolled: 1-line block ×4, first 2 shown]
	v_add3_u32 v2, v65, v95, v149
	v_add3_u32 v65, v76, v96, v149
	;; [unrolled: 1-line block ×3, first 2 shown]
	v_fma_f64 v[13:14], v[13:14], 2.0, -v[45:46]
	v_fma_f64 v[15:16], v[15:16], 2.0, -v[47:48]
	;; [unrolled: 1-line block ×12, first 2 shown]
	ds_store_b128 v3, v[5:8]
	ds_store_b128 v3, v[37:40] offset:272
	ds_store_b128 v1, v[9:12]
	ds_store_b128 v1, v[41:44] offset:272
	;; [unrolled: 2-line block ×8, first 2 shown]
	global_wb scope:SCOPE_SE
	s_wait_dscnt 0x0
	s_barrier_signal -1
	s_barrier_wait -1
	global_inv scope:SCOPE_SE
	s_clause 0xe
	global_load_b128 v[0:3], v66, s[4:5] offset:272
	global_load_b128 v[5:8], v66, s[4:5] offset:288
	;; [unrolled: 1-line block ×15, first 2 shown]
	ds_load_b128 v[61:64], v148 offset:544
	ds_load_b128 v[72:75], v148 offset:1088
	;; [unrolled: 1-line block ×15, first 2 shown]
	s_wait_loadcnt_dscnt 0xe0e
	v_mul_f64_e32 v[65:66], v[63:64], v[2:3]
	v_mul_f64_e32 v[2:3], v[61:62], v[2:3]
	s_wait_loadcnt_dscnt 0xd0d
	v_mul_f64_e32 v[128:129], v[74:75], v[7:8]
	v_mul_f64_e32 v[7:8], v[72:73], v[7:8]
	;; [unrolled: 3-line block ×9, first 2 shown]
	s_wait_loadcnt 0x5
	v_mul_f64_e32 v[144:145], v[106:107], v[39:40]
	v_mul_f64_e32 v[39:40], v[104:105], v[39:40]
	s_wait_loadcnt_dscnt 0x401
	v_mul_f64_e32 v[149:150], v[122:123], v[43:44]
	v_mul_f64_e32 v[43:44], v[120:121], v[43:44]
	s_wait_loadcnt 0x3
	v_mul_f64_e32 v[151:152], v[102:103], v[47:48]
	v_mul_f64_e32 v[47:48], v[100:101], v[47:48]
	s_wait_loadcnt 0x2
	;; [unrolled: 3-line block ×3, first 2 shown]
	v_mul_f64_e32 v[155:156], v[110:111], v[55:56]
	v_mul_f64_e32 v[55:56], v[108:109], v[55:56]
	s_wait_loadcnt_dscnt 0x0
	v_mul_f64_e32 v[157:158], v[124:125], v[59:60]
	v_mul_f64_e32 v[59:60], v[126:127], v[59:60]
	v_fma_f64 v[61:62], v[61:62], v[0:1], -v[65:66]
	v_fma_f64 v[63:64], v[63:64], v[0:1], v[2:3]
	v_fma_f64 v[65:66], v[72:73], v[5:6], -v[128:129]
	v_fma_f64 v[5:6], v[74:75], v[5:6], v[7:8]
	;; [unrolled: 2-line block ×14, first 2 shown]
	v_fma_f64 v[55:56], v[126:127], v[57:58], v[157:158]
	v_fma_f64 v[57:58], v[124:125], v[57:58], -v[59:60]
	ds_load_b128 v[0:3], v146
	global_wb scope:SCOPE_SE
	s_wait_dscnt 0x0
	s_barrier_signal -1
	s_barrier_wait -1
	global_inv scope:SCOPE_SE
	v_add_f64_e64 v[27:28], v[0:1], -v[27:28]
	v_add_f64_e64 v[29:30], v[2:3], -v[29:30]
	;; [unrolled: 1-line block ×16, first 2 shown]
	v_fma_f64 v[0:1], v[0:1], 2.0, -v[27:28]
	v_fma_f64 v[2:3], v[2:3], 2.0, -v[29:30]
	v_add_f64_e32 v[72:73], v[29:30], v[31:32]
	v_add_f64_e64 v[59:60], v[27:28], -v[33:34]
	v_fma_f64 v[11:12], v[11:12], 2.0, -v[31:32]
	v_fma_f64 v[13:14], v[13:14], 2.0, -v[33:34]
	v_add_f64_e32 v[76:77], v[37:38], v[39:40]
	v_add_f64_e64 v[74:75], v[35:36], -v[41:42]
	;; [unrolled: 4-line block ×3, first 2 shown]
	v_fma_f64 v[19:20], v[19:20], 2.0, -v[39:40]
	v_fma_f64 v[21:22], v[21:22], 2.0, -v[41:42]
	v_add_f64_e64 v[82:83], v[51:52], -v[55:56]
	v_add_f64_e32 v[84:85], v[53:54], v[57:58]
	v_fma_f64 v[33:34], v[61:62], 2.0, -v[43:44]
	v_fma_f64 v[39:40], v[63:64], 2.0, -v[45:46]
	;; [unrolled: 1-line block ×10, first 2 shown]
	v_add_f64_e64 v[11:12], v[0:1], -v[11:12]
	v_add_f64_e64 v[13:14], v[2:3], -v[13:14]
	v_fma_f64 v[37:38], v[37:38], 2.0, -v[76:77]
	v_fma_f64 v[35:36], v[35:36], 2.0, -v[74:75]
	s_wait_alu 0xfffe
	v_fma_f64 v[49:50], v[74:75], s[2:3], v[59:60]
	v_fma_f64 v[41:42], v[43:44], 2.0, -v[78:79]
	v_fma_f64 v[43:44], v[45:46], 2.0, -v[80:81]
	v_add_f64_e64 v[19:20], v[31:32], -v[19:20]
	v_fma_f64 v[45:46], v[51:52], 2.0, -v[82:83]
	v_fma_f64 v[47:48], v[53:54], 2.0, -v[84:85]
	v_add_f64_e64 v[21:22], v[5:6], -v[21:22]
	v_fma_f64 v[51:52], v[76:77], s[2:3], v[72:73]
	v_add_f64_e64 v[15:16], v[33:34], -v[15:16]
	v_add_f64_e64 v[17:18], v[39:40], -v[17:18]
	v_fma_f64 v[53:54], v[82:83], s[2:3], v[78:79]
	v_fma_f64 v[55:56], v[84:85], s[2:3], v[80:81]
	v_add_f64_e64 v[25:26], v[9:10], -v[25:26]
	v_add_f64_e64 v[23:24], v[7:8], -v[23:24]
	v_fma_f64 v[0:1], v[0:1], 2.0, -v[11:12]
	v_fma_f64 v[2:3], v[2:3], 2.0, -v[13:14]
	v_fma_f64 v[61:62], v[37:38], s[0:1], v[29:30]
	v_fma_f64 v[57:58], v[35:36], s[0:1], v[27:28]
	;; [unrolled: 1-line block ×3, first 2 shown]
	v_fma_f64 v[31:32], v[31:32], 2.0, -v[19:20]
	v_fma_f64 v[63:64], v[45:46], s[0:1], v[41:42]
	v_fma_f64 v[65:66], v[47:48], s[0:1], v[43:44]
	v_fma_f64 v[5:6], v[5:6], 2.0, -v[21:22]
	v_add_f64_e64 v[86:87], v[11:12], -v[21:22]
	v_add_f64_e32 v[88:89], v[13:14], v[19:20]
	v_fma_f64 v[51:52], v[74:75], s[2:3], v[51:52]
	v_fma_f64 v[53:54], v[84:85], s[0:1], v[53:54]
	;; [unrolled: 1-line block ×3, first 2 shown]
	v_add_f64_e64 v[19:20], v[15:16], -v[25:26]
	v_add_f64_e32 v[21:22], v[17:18], v[23:24]
	v_fma_f64 v[33:34], v[33:34], 2.0, -v[15:16]
	v_fma_f64 v[39:40], v[39:40], 2.0, -v[17:18]
	;; [unrolled: 1-line block ×4, first 2 shown]
	v_fma_f64 v[61:62], v[35:36], s[2:3], v[61:62]
	v_fma_f64 v[57:58], v[37:38], s[0:1], v[57:58]
	v_fma_f64 v[59:60], v[59:60], 2.0, -v[49:50]
	v_fma_f64 v[23:24], v[47:48], s[0:1], v[63:64]
	v_fma_f64 v[25:26], v[45:46], s[2:3], v[65:66]
	v_add_f64_e64 v[45:46], v[0:1], -v[31:32]
	v_fma_f64 v[63:64], v[11:12], 2.0, -v[86:87]
	v_fma_f64 v[65:66], v[13:14], 2.0, -v[88:89]
	;; [unrolled: 1-line block ×4, first 2 shown]
	v_add_f64_e64 v[47:48], v[2:3], -v[5:6]
	v_fma_f64 v[15:16], v[15:16], 2.0, -v[19:20]
	v_fma_f64 v[13:14], v[17:18], 2.0, -v[21:22]
	;; [unrolled: 1-line block ×3, first 2 shown]
	v_fma_f64 v[5:6], v[19:20], s[2:3], v[86:87]
	v_add_f64_e64 v[11:12], v[33:34], -v[7:8]
	v_add_f64_e64 v[9:10], v[39:40], -v[9:10]
	v_fma_f64 v[7:8], v[21:22], s[2:3], v[88:89]
	v_fma_f64 v[37:38], v[55:56], s[14:15], v[51:52]
	v_fma_f64 v[76:77], v[29:30], 2.0, -v[61:62]
	v_fma_f64 v[74:75], v[27:28], 2.0, -v[57:58]
	v_fma_f64 v[27:28], v[53:54], s[14:15], v[49:50]
	v_fma_f64 v[35:36], v[41:42], 2.0, -v[23:24]
	v_fma_f64 v[29:30], v[43:44], 2.0, -v[25:26]
	v_fma_f64 v[90:91], v[23:24], s[12:13], v[57:58]
	v_fma_f64 v[92:93], v[25:26], s[12:13], v[61:62]
	v_fma_f64 v[78:79], v[0:1], 2.0, -v[45:46]
	v_fma_f64 v[82:83], v[31:32], s[10:11], v[59:60]
	v_fma_f64 v[80:81], v[2:3], 2.0, -v[47:48]
	v_fma_f64 v[41:42], v[15:16], s[0:1], v[63:64]
	v_fma_f64 v[43:44], v[13:14], s[0:1], v[65:66]
	;; [unrolled: 1-line block ×4, first 2 shown]
	v_fma_f64 v[33:34], v[33:34], 2.0, -v[11:12]
	v_fma_f64 v[39:40], v[39:40], 2.0, -v[9:10]
	v_fma_f64 v[2:3], v[19:20], s[2:3], v[7:8]
	v_fma_f64 v[7:8], v[53:54], s[12:13], v[37:38]
	v_add_f64_e64 v[9:10], v[45:46], -v[9:10]
	v_add_f64_e32 v[11:12], v[47:48], v[11:12]
	v_fma_f64 v[5:6], v[55:56], s[10:11], v[27:28]
	v_fma_f64 v[94:95], v[35:36], s[6:7], v[74:75]
	v_fma_f64 v[96:97], v[29:30], s[6:7], v[76:77]
	v_fma_f64 v[21:22], v[25:26], s[6:7], v[90:91]
	v_fma_f64 v[23:24], v[23:24], s[14:15], v[92:93]
	v_fma_f64 v[17:18], v[17:18], s[6:7], v[82:83]
	v_fma_f64 v[13:14], v[13:14], s[0:1], v[41:42]
	v_fma_f64 v[15:16], v[15:16], s[2:3], v[43:44]
	v_fma_f64 v[19:20], v[31:32], s[14:15], v[84:85]
	s_mov_b32 s1, exec_lo
	v_add_f64_e64 v[25:26], v[78:79], -v[33:34]
	v_add_f64_e64 v[27:28], v[80:81], -v[39:40]
	v_fma_f64 v[33:34], v[86:87], 2.0, -v[0:1]
	v_fma_f64 v[39:40], v[51:52], 2.0, -v[7:8]
	;; [unrolled: 1-line block ×5, first 2 shown]
	v_fma_f64 v[29:30], v[29:30], s[10:11], v[94:95]
	v_fma_f64 v[31:32], v[35:36], s[12:13], v[96:97]
	v_fma_f64 v[35:36], v[88:89], 2.0, -v[2:3]
	v_fma_f64 v[53:54], v[57:58], 2.0, -v[21:22]
	;; [unrolled: 1-line block ×11, first 2 shown]
	ds_store_b128 v148, v[0:3] offset:7616
	ds_store_b128 v148, v[5:8] offset:8160
	ds_store_b128 v148, v[33:36] offset:3264
	ds_store_b128 v148, v[37:40] offset:3808
	ds_store_b128 v148, v[13:16] offset:5440
	ds_store_b128 v148, v[17:20] offset:5984
	ds_store_b128 v148, v[9:12] offset:6528
	ds_store_b128 v148, v[21:24] offset:7072
	ds_store_b128 v148, v[45:48] offset:1088
	ds_store_b128 v148, v[49:52] offset:1632
	ds_store_b128 v148, v[41:44] offset:2176
	ds_store_b128 v148, v[53:56] offset:2720
	ds_store_b128 v148, v[25:28] offset:4352
	ds_store_b128 v148, v[29:32] offset:4896
	ds_store_b128 v148, v[57:60]
	ds_store_b128 v148, v[61:64] offset:544
	global_wb scope:SCOPE_SE
	s_wait_dscnt 0x0
	s_barrier_signal -1
	s_barrier_wait -1
	global_inv scope:SCOPE_SE
	ds_load_b128 v[0:3], v146
	v_sub_nc_u32_e32 v11, v69, v147
                                        ; implicit-def: $vgpr7_vgpr8
                                        ; implicit-def: $vgpr5_vgpr6
                                        ; implicit-def: $vgpr9_vgpr10
	v_cmpx_ne_u32_e32 0, v68
	s_wait_alu 0xfffe
	s_xor_b32 s1, exec_lo, s1
	s_cbranch_execz .LBB0_14
; %bb.13:
	v_mov_b32_e32 v69, v4
	ds_load_b128 v[12:15], v11 offset:8704
	v_lshlrev_b64_e32 v[4:5], 4, v[68:69]
	s_delay_alu instid0(VALU_DEP_1) | instskip(SKIP_1) | instid1(VALU_DEP_2)
	v_add_co_u32 v4, s0, s4, v4
	s_wait_alu 0xf1ff
	v_add_co_ci_u32_e64 v5, s0, s5, v5, s0
	global_load_b128 v[7:10], v[4:5], off offset:8432
	s_wait_dscnt 0x0
	v_add_f64_e64 v[4:5], v[0:1], -v[12:13]
	v_add_f64_e32 v[16:17], v[2:3], v[14:15]
	v_add_f64_e64 v[2:3], v[2:3], -v[14:15]
	v_add_f64_e32 v[0:1], v[0:1], v[12:13]
	s_delay_alu instid0(VALU_DEP_4) | instskip(NEXT) | instid1(VALU_DEP_4)
	v_mul_f64_e32 v[4:5], 0.5, v[4:5]
	v_mul_f64_e32 v[14:15], 0.5, v[16:17]
	s_delay_alu instid0(VALU_DEP_4) | instskip(SKIP_1) | instid1(VALU_DEP_3)
	v_mul_f64_e32 v[2:3], 0.5, v[2:3]
	s_wait_loadcnt 0x0
	v_mul_f64_e32 v[12:13], v[4:5], v[9:10]
	s_delay_alu instid0(VALU_DEP_2) | instskip(SKIP_1) | instid1(VALU_DEP_3)
	v_fma_f64 v[16:17], v[14:15], v[9:10], v[2:3]
	v_fma_f64 v[2:3], v[14:15], v[9:10], -v[2:3]
	v_fma_f64 v[9:10], v[0:1], 0.5, v[12:13]
	v_fma_f64 v[0:1], v[0:1], 0.5, -v[12:13]
	s_delay_alu instid0(VALU_DEP_4) | instskip(NEXT) | instid1(VALU_DEP_4)
	v_fma_f64 v[12:13], -v[7:8], v[4:5], v[16:17]
	v_fma_f64 v[2:3], -v[7:8], v[4:5], v[2:3]
	ds_store_b64 v146, v[12:13] offset:8
	ds_store_b64 v11, v[2:3] offset:8712
	v_fma_f64 v[5:6], v[14:15], v[7:8], v[9:10]
	v_fma_f64 v[7:8], -v[14:15], v[7:8], v[0:1]
	v_dual_mov_b32 v9, v68 :: v_dual_mov_b32 v10, v69
                                        ; implicit-def: $vgpr0_vgpr1
                                        ; implicit-def: $vgpr69
.LBB0_14:
	s_wait_alu 0xfffe
	s_and_not1_saveexec_b32 s0, s1
	s_cbranch_execz .LBB0_16
; %bb.15:
	s_wait_dscnt 0x0
	v_add_f64_e32 v[5:6], v[0:1], v[2:3]
	v_add_f64_e64 v[7:8], v[0:1], -v[2:3]
	s_mov_b32 s2, 0
	v_mov_b32_e32 v9, 0
	s_wait_alu 0xfffe
	s_mov_b32 s3, s2
	s_wait_alu 0xfffe
	v_dual_mov_b32 v0, s2 :: v_dual_mov_b32 v1, s3
	v_mov_b32_e32 v10, 0
	ds_store_b64 v146, v[0:1] offset:8
	ds_store_b64 v11, v[0:1] offset:8712
	ds_load_b64 v[0:1], v69 offset:4360
	s_wait_dscnt 0x0
	v_xor_b32_e32 v1, 0x80000000, v1
	ds_store_b64 v69, v[0:1] offset:4360
.LBB0_16:
	s_wait_alu 0xfffe
	s_or_b32 exec_lo, exec_lo, s0
	s_wait_dscnt 0x0
	v_lshlrev_b64_e32 v[0:1], 4, v[9:10]
	s_add_nc_u64 s[0:1], s[4:5], 0x20f0
	v_add_nc_u32_e32 v10, 0x800, v146
	s_wait_alu 0xfffe
	s_delay_alu instid0(VALU_DEP_2)
	v_add_co_u32 v20, s0, s0, v0
	s_wait_alu 0xf1ff
	v_add_co_ci_u32_e64 v21, s0, s1, v1, s0
	s_clause 0x1
	global_load_b128 v[12:15], v[20:21], off offset:544
	global_load_b128 v[16:19], v[20:21], off offset:1088
	ds_store_b64 v146, v[5:6]
	ds_store_b64 v11, v[7:8] offset:8704
	ds_load_b128 v[2:5], v146 offset:544
	ds_load_b128 v[6:9], v11 offset:8160
	s_wait_dscnt 0x0
	v_add_f64_e64 v[22:23], v[2:3], -v[6:7]
	v_add_f64_e32 v[24:25], v[4:5], v[8:9]
	v_add_f64_e64 v[4:5], v[4:5], -v[8:9]
	v_add_f64_e32 v[2:3], v[2:3], v[6:7]
	s_delay_alu instid0(VALU_DEP_4) | instskip(NEXT) | instid1(VALU_DEP_4)
	v_mul_f64_e32 v[8:9], 0.5, v[22:23]
	v_mul_f64_e32 v[22:23], 0.5, v[24:25]
	s_delay_alu instid0(VALU_DEP_4) | instskip(SKIP_1) | instid1(VALU_DEP_3)
	v_mul_f64_e32 v[4:5], 0.5, v[4:5]
	s_wait_loadcnt 0x1
	v_mul_f64_e32 v[6:7], v[8:9], v[14:15]
	s_delay_alu instid0(VALU_DEP_2) | instskip(SKIP_1) | instid1(VALU_DEP_3)
	v_fma_f64 v[24:25], v[22:23], v[14:15], v[4:5]
	v_fma_f64 v[4:5], v[22:23], v[14:15], -v[4:5]
	v_fma_f64 v[14:15], v[2:3], 0.5, v[6:7]
	v_fma_f64 v[2:3], v[2:3], 0.5, -v[6:7]
	s_delay_alu instid0(VALU_DEP_4) | instskip(NEXT) | instid1(VALU_DEP_4)
	v_fma_f64 v[24:25], -v[12:13], v[8:9], v[24:25]
	v_fma_f64 v[4:5], -v[12:13], v[8:9], v[4:5]
	global_load_b128 v[6:9], v[20:21], off offset:1632
	v_fma_f64 v[14:15], v[22:23], v[12:13], v[14:15]
	v_fma_f64 v[2:3], -v[22:23], v[12:13], v[2:3]
	ds_store_2addr_b64 v146, v[14:15], v[24:25] offset0:68 offset1:69
	ds_store_b128 v11, v[2:5] offset:8160
	ds_load_b128 v[2:5], v146 offset:1088
	ds_load_b128 v[12:15], v11 offset:7616
	s_wait_dscnt 0x0
	v_add_f64_e64 v[22:23], v[2:3], -v[12:13]
	v_add_f64_e32 v[24:25], v[4:5], v[14:15]
	v_add_f64_e64 v[4:5], v[4:5], -v[14:15]
	v_add_f64_e32 v[2:3], v[2:3], v[12:13]
	s_delay_alu instid0(VALU_DEP_4) | instskip(NEXT) | instid1(VALU_DEP_4)
	v_mul_f64_e32 v[14:15], 0.5, v[22:23]
	v_mul_f64_e32 v[22:23], 0.5, v[24:25]
	s_delay_alu instid0(VALU_DEP_4) | instskip(SKIP_1) | instid1(VALU_DEP_3)
	v_mul_f64_e32 v[4:5], 0.5, v[4:5]
	s_wait_loadcnt 0x1
	v_mul_f64_e32 v[12:13], v[14:15], v[18:19]
	s_delay_alu instid0(VALU_DEP_2) | instskip(SKIP_1) | instid1(VALU_DEP_3)
	v_fma_f64 v[24:25], v[22:23], v[18:19], v[4:5]
	v_fma_f64 v[4:5], v[22:23], v[18:19], -v[4:5]
	v_fma_f64 v[18:19], v[2:3], 0.5, v[12:13]
	v_fma_f64 v[2:3], v[2:3], 0.5, -v[12:13]
	s_delay_alu instid0(VALU_DEP_4) | instskip(NEXT) | instid1(VALU_DEP_4)
	v_fma_f64 v[24:25], -v[16:17], v[14:15], v[24:25]
	v_fma_f64 v[4:5], -v[16:17], v[14:15], v[4:5]
	global_load_b128 v[12:15], v[20:21], off offset:2176
	v_fma_f64 v[18:19], v[22:23], v[16:17], v[18:19]
	v_fma_f64 v[2:3], -v[22:23], v[16:17], v[2:3]
	ds_store_2addr_b64 v146, v[18:19], v[24:25] offset0:136 offset1:137
	ds_store_b128 v11, v[2:5] offset:7616
	ds_load_b128 v[2:5], v146 offset:1632
	ds_load_b128 v[16:19], v11 offset:7072
	s_wait_dscnt 0x0
	v_add_f64_e64 v[22:23], v[2:3], -v[16:17]
	v_add_f64_e32 v[24:25], v[4:5], v[18:19]
	v_add_f64_e64 v[4:5], v[4:5], -v[18:19]
	v_add_f64_e32 v[2:3], v[2:3], v[16:17]
	s_delay_alu instid0(VALU_DEP_4) | instskip(NEXT) | instid1(VALU_DEP_4)
	v_mul_f64_e32 v[18:19], 0.5, v[22:23]
	v_mul_f64_e32 v[22:23], 0.5, v[24:25]
	s_delay_alu instid0(VALU_DEP_4) | instskip(SKIP_1) | instid1(VALU_DEP_3)
	v_mul_f64_e32 v[4:5], 0.5, v[4:5]
	s_wait_loadcnt 0x1
	v_mul_f64_e32 v[16:17], v[18:19], v[8:9]
	s_delay_alu instid0(VALU_DEP_2) | instskip(SKIP_1) | instid1(VALU_DEP_3)
	v_fma_f64 v[24:25], v[22:23], v[8:9], v[4:5]
	v_fma_f64 v[4:5], v[22:23], v[8:9], -v[4:5]
	v_fma_f64 v[8:9], v[2:3], 0.5, v[16:17]
	v_fma_f64 v[2:3], v[2:3], 0.5, -v[16:17]
	s_delay_alu instid0(VALU_DEP_4) | instskip(NEXT) | instid1(VALU_DEP_4)
	v_fma_f64 v[16:17], -v[6:7], v[18:19], v[24:25]
	v_fma_f64 v[4:5], -v[6:7], v[18:19], v[4:5]
	s_delay_alu instid0(VALU_DEP_4) | instskip(NEXT) | instid1(VALU_DEP_4)
	v_fma_f64 v[18:19], v[22:23], v[6:7], v[8:9]
	v_fma_f64 v[2:3], -v[22:23], v[6:7], v[2:3]
	global_load_b128 v[6:9], v[20:21], off offset:2720
	ds_store_2addr_b64 v146, v[18:19], v[16:17] offset0:204 offset1:205
	ds_store_b128 v11, v[2:5] offset:7072
	ds_load_b128 v[2:5], v146 offset:2176
	ds_load_b128 v[16:19], v11 offset:6528
	s_wait_dscnt 0x0
	v_add_f64_e64 v[22:23], v[2:3], -v[16:17]
	v_add_f64_e32 v[24:25], v[4:5], v[18:19]
	v_add_f64_e64 v[4:5], v[4:5], -v[18:19]
	v_add_f64_e32 v[2:3], v[2:3], v[16:17]
	s_delay_alu instid0(VALU_DEP_4) | instskip(NEXT) | instid1(VALU_DEP_4)
	v_mul_f64_e32 v[18:19], 0.5, v[22:23]
	v_mul_f64_e32 v[22:23], 0.5, v[24:25]
	s_delay_alu instid0(VALU_DEP_4) | instskip(SKIP_1) | instid1(VALU_DEP_3)
	v_mul_f64_e32 v[4:5], 0.5, v[4:5]
	s_wait_loadcnt 0x1
	v_mul_f64_e32 v[16:17], v[18:19], v[14:15]
	s_delay_alu instid0(VALU_DEP_2) | instskip(SKIP_1) | instid1(VALU_DEP_3)
	v_fma_f64 v[24:25], v[22:23], v[14:15], v[4:5]
	v_fma_f64 v[4:5], v[22:23], v[14:15], -v[4:5]
	v_fma_f64 v[14:15], v[2:3], 0.5, v[16:17]
	v_fma_f64 v[2:3], v[2:3], 0.5, -v[16:17]
	s_delay_alu instid0(VALU_DEP_4) | instskip(NEXT) | instid1(VALU_DEP_4)
	v_fma_f64 v[16:17], -v[12:13], v[18:19], v[24:25]
	v_fma_f64 v[4:5], -v[12:13], v[18:19], v[4:5]
	s_delay_alu instid0(VALU_DEP_4) | instskip(NEXT) | instid1(VALU_DEP_4)
	v_fma_f64 v[18:19], v[22:23], v[12:13], v[14:15]
	v_fma_f64 v[2:3], -v[22:23], v[12:13], v[2:3]
	global_load_b128 v[12:15], v[20:21], off offset:3264
	;; [unrolled: 28-line block ×3, first 2 shown]
	ds_store_2addr_b64 v10, v[18:19], v[16:17] offset0:84 offset1:85
	ds_store_b128 v11, v[2:5] offset:5984
	ds_load_b128 v[2:5], v146 offset:3264
	ds_load_b128 v[16:19], v11 offset:5440
	s_wait_dscnt 0x0
	v_add_f64_e64 v[20:21], v[2:3], -v[16:17]
	v_add_f64_e32 v[22:23], v[4:5], v[18:19]
	v_add_f64_e64 v[4:5], v[4:5], -v[18:19]
	v_add_f64_e32 v[2:3], v[2:3], v[16:17]
	s_delay_alu instid0(VALU_DEP_4) | instskip(NEXT) | instid1(VALU_DEP_4)
	v_mul_f64_e32 v[18:19], 0.5, v[20:21]
	v_mul_f64_e32 v[20:21], 0.5, v[22:23]
	s_delay_alu instid0(VALU_DEP_4) | instskip(SKIP_1) | instid1(VALU_DEP_3)
	v_mul_f64_e32 v[4:5], 0.5, v[4:5]
	s_wait_loadcnt 0x1
	v_mul_f64_e32 v[16:17], v[18:19], v[14:15]
	s_delay_alu instid0(VALU_DEP_2) | instskip(SKIP_1) | instid1(VALU_DEP_3)
	v_fma_f64 v[22:23], v[20:21], v[14:15], v[4:5]
	v_fma_f64 v[4:5], v[20:21], v[14:15], -v[4:5]
	v_fma_f64 v[14:15], v[2:3], 0.5, v[16:17]
	v_fma_f64 v[2:3], v[2:3], 0.5, -v[16:17]
	s_delay_alu instid0(VALU_DEP_4) | instskip(NEXT) | instid1(VALU_DEP_4)
	v_fma_f64 v[16:17], -v[12:13], v[18:19], v[22:23]
	v_fma_f64 v[4:5], -v[12:13], v[18:19], v[4:5]
	s_delay_alu instid0(VALU_DEP_4) | instskip(NEXT) | instid1(VALU_DEP_4)
	v_fma_f64 v[14:15], v[20:21], v[12:13], v[14:15]
	v_fma_f64 v[2:3], -v[20:21], v[12:13], v[2:3]
	ds_store_2addr_b64 v10, v[14:15], v[16:17] offset0:152 offset1:153
	ds_store_b128 v11, v[2:5] offset:5440
	ds_load_b128 v[2:5], v146 offset:3808
	ds_load_b128 v[12:15], v11 offset:4896
	s_wait_dscnt 0x0
	v_add_f64_e64 v[16:17], v[2:3], -v[12:13]
	v_add_f64_e32 v[18:19], v[4:5], v[14:15]
	v_add_f64_e64 v[4:5], v[4:5], -v[14:15]
	v_add_f64_e32 v[2:3], v[2:3], v[12:13]
	s_delay_alu instid0(VALU_DEP_4) | instskip(NEXT) | instid1(VALU_DEP_4)
	v_mul_f64_e32 v[14:15], 0.5, v[16:17]
	v_mul_f64_e32 v[16:17], 0.5, v[18:19]
	s_delay_alu instid0(VALU_DEP_4) | instskip(SKIP_1) | instid1(VALU_DEP_3)
	v_mul_f64_e32 v[4:5], 0.5, v[4:5]
	s_wait_loadcnt 0x0
	v_mul_f64_e32 v[12:13], v[14:15], v[8:9]
	s_delay_alu instid0(VALU_DEP_2) | instskip(SKIP_1) | instid1(VALU_DEP_3)
	v_fma_f64 v[18:19], v[16:17], v[8:9], v[4:5]
	v_fma_f64 v[4:5], v[16:17], v[8:9], -v[4:5]
	v_fma_f64 v[8:9], v[2:3], 0.5, v[12:13]
	v_fma_f64 v[2:3], v[2:3], 0.5, -v[12:13]
	s_delay_alu instid0(VALU_DEP_4) | instskip(NEXT) | instid1(VALU_DEP_4)
	v_fma_f64 v[12:13], -v[6:7], v[14:15], v[18:19]
	v_fma_f64 v[4:5], -v[6:7], v[14:15], v[4:5]
	s_delay_alu instid0(VALU_DEP_4) | instskip(NEXT) | instid1(VALU_DEP_4)
	v_fma_f64 v[8:9], v[16:17], v[6:7], v[8:9]
	v_fma_f64 v[2:3], -v[16:17], v[6:7], v[2:3]
	ds_store_2addr_b64 v10, v[8:9], v[12:13] offset0:220 offset1:221
	ds_store_b128 v11, v[2:5] offset:4896
	global_wb scope:SCOPE_SE
	s_wait_dscnt 0x0
	s_barrier_signal -1
	s_barrier_wait -1
	global_inv scope:SCOPE_SE
	s_and_saveexec_b32 s0, vcc_lo
	s_cbranch_execz .LBB0_19
; %bb.17:
	ds_load_b128 v[4:7], v146
	ds_load_b128 v[8:11], v146 offset:544
	ds_load_b128 v[12:15], v146 offset:1088
	;; [unrolled: 1-line block ×15, first 2 shown]
	v_add_co_u32 v2, vcc_lo, s8, v70
	s_wait_alu 0xfffd
	v_add_co_ci_u32_e32 v3, vcc_lo, s9, v71, vcc_lo
	s_delay_alu instid0(VALU_DEP_2) | instskip(SKIP_1) | instid1(VALU_DEP_2)
	v_add_co_u32 v0, vcc_lo, v2, v0
	s_wait_alu 0xfffd
	v_add_co_ci_u32_e32 v1, vcc_lo, v3, v1, vcc_lo
	v_cmp_eq_u32_e32 vcc_lo, 33, v68
	s_wait_dscnt 0xf
	global_store_b128 v[0:1], v[4:7], off
	s_wait_dscnt 0xe
	global_store_b128 v[0:1], v[8:11], off offset:544
	s_wait_dscnt 0xd
	global_store_b128 v[0:1], v[12:15], off offset:1088
	;; [unrolled: 2-line block ×15, first 2 shown]
	s_and_b32 exec_lo, exec_lo, vcc_lo
	s_cbranch_execz .LBB0_19
; %bb.18:
	ds_load_b128 v[4:7], v146 offset:8176
	s_wait_dscnt 0x0
	global_store_b128 v[2:3], v[4:7], off offset:8704
.LBB0_19:
	s_nop 0
	s_sendmsg sendmsg(MSG_DEALLOC_VGPRS)
	s_endpgm
	.section	.rodata,"a",@progbits
	.p2align	6, 0x0
	.amdhsa_kernel fft_rtc_fwd_len544_factors_17_2_16_wgs_102_tpt_34_halfLds_dp_ip_CI_unitstride_sbrr_R2C_dirReg
		.amdhsa_group_segment_fixed_size 0
		.amdhsa_private_segment_fixed_size 0
		.amdhsa_kernarg_size 88
		.amdhsa_user_sgpr_count 2
		.amdhsa_user_sgpr_dispatch_ptr 0
		.amdhsa_user_sgpr_queue_ptr 0
		.amdhsa_user_sgpr_kernarg_segment_ptr 1
		.amdhsa_user_sgpr_dispatch_id 0
		.amdhsa_user_sgpr_private_segment_size 0
		.amdhsa_wavefront_size32 1
		.amdhsa_uses_dynamic_stack 0
		.amdhsa_enable_private_segment 0
		.amdhsa_system_sgpr_workgroup_id_x 1
		.amdhsa_system_sgpr_workgroup_id_y 0
		.amdhsa_system_sgpr_workgroup_id_z 0
		.amdhsa_system_sgpr_workgroup_info 0
		.amdhsa_system_vgpr_workitem_id 0
		.amdhsa_next_free_vgpr 256
		.amdhsa_next_free_sgpr 54
		.amdhsa_reserve_vcc 1
		.amdhsa_float_round_mode_32 0
		.amdhsa_float_round_mode_16_64 0
		.amdhsa_float_denorm_mode_32 3
		.amdhsa_float_denorm_mode_16_64 3
		.amdhsa_fp16_overflow 0
		.amdhsa_workgroup_processor_mode 1
		.amdhsa_memory_ordered 1
		.amdhsa_forward_progress 0
		.amdhsa_round_robin_scheduling 0
		.amdhsa_exception_fp_ieee_invalid_op 0
		.amdhsa_exception_fp_denorm_src 0
		.amdhsa_exception_fp_ieee_div_zero 0
		.amdhsa_exception_fp_ieee_overflow 0
		.amdhsa_exception_fp_ieee_underflow 0
		.amdhsa_exception_fp_ieee_inexact 0
		.amdhsa_exception_int_div_zero 0
	.end_amdhsa_kernel
	.text
.Lfunc_end0:
	.size	fft_rtc_fwd_len544_factors_17_2_16_wgs_102_tpt_34_halfLds_dp_ip_CI_unitstride_sbrr_R2C_dirReg, .Lfunc_end0-fft_rtc_fwd_len544_factors_17_2_16_wgs_102_tpt_34_halfLds_dp_ip_CI_unitstride_sbrr_R2C_dirReg
                                        ; -- End function
	.section	.AMDGPU.csdata,"",@progbits
; Kernel info:
; codeLenInByte = 12512
; NumSgprs: 56
; NumVgprs: 256
; ScratchSize: 0
; MemoryBound: 0
; FloatMode: 240
; IeeeMode: 1
; LDSByteSize: 0 bytes/workgroup (compile time only)
; SGPRBlocks: 6
; VGPRBlocks: 31
; NumSGPRsForWavesPerEU: 56
; NumVGPRsForWavesPerEU: 256
; Occupancy: 5
; WaveLimiterHint : 1
; COMPUTE_PGM_RSRC2:SCRATCH_EN: 0
; COMPUTE_PGM_RSRC2:USER_SGPR: 2
; COMPUTE_PGM_RSRC2:TRAP_HANDLER: 0
; COMPUTE_PGM_RSRC2:TGID_X_EN: 1
; COMPUTE_PGM_RSRC2:TGID_Y_EN: 0
; COMPUTE_PGM_RSRC2:TGID_Z_EN: 0
; COMPUTE_PGM_RSRC2:TIDIG_COMP_CNT: 0
	.text
	.p2alignl 7, 3214868480
	.fill 96, 4, 3214868480
	.type	__hip_cuid_ed66de758af7593e,@object ; @__hip_cuid_ed66de758af7593e
	.section	.bss,"aw",@nobits
	.globl	__hip_cuid_ed66de758af7593e
__hip_cuid_ed66de758af7593e:
	.byte	0                               ; 0x0
	.size	__hip_cuid_ed66de758af7593e, 1

	.ident	"AMD clang version 19.0.0git (https://github.com/RadeonOpenCompute/llvm-project roc-6.4.0 25133 c7fe45cf4b819c5991fe208aaa96edf142730f1d)"
	.section	".note.GNU-stack","",@progbits
	.addrsig
	.addrsig_sym __hip_cuid_ed66de758af7593e
	.amdgpu_metadata
---
amdhsa.kernels:
  - .args:
      - .actual_access:  read_only
        .address_space:  global
        .offset:         0
        .size:           8
        .value_kind:     global_buffer
      - .offset:         8
        .size:           8
        .value_kind:     by_value
      - .actual_access:  read_only
        .address_space:  global
        .offset:         16
        .size:           8
        .value_kind:     global_buffer
      - .actual_access:  read_only
        .address_space:  global
        .offset:         24
        .size:           8
        .value_kind:     global_buffer
      - .offset:         32
        .size:           8
        .value_kind:     by_value
      - .actual_access:  read_only
        .address_space:  global
        .offset:         40
        .size:           8
        .value_kind:     global_buffer
      - .actual_access:  read_only
        .address_space:  global
        .offset:         48
        .size:           8
        .value_kind:     global_buffer
      - .offset:         56
        .size:           4
        .value_kind:     by_value
      - .actual_access:  read_only
        .address_space:  global
        .offset:         64
        .size:           8
        .value_kind:     global_buffer
      - .actual_access:  read_only
        .address_space:  global
        .offset:         72
        .size:           8
        .value_kind:     global_buffer
      - .address_space:  global
        .offset:         80
        .size:           8
        .value_kind:     global_buffer
    .group_segment_fixed_size: 0
    .kernarg_segment_align: 8
    .kernarg_segment_size: 88
    .language:       OpenCL C
    .language_version:
      - 2
      - 0
    .max_flat_workgroup_size: 102
    .name:           fft_rtc_fwd_len544_factors_17_2_16_wgs_102_tpt_34_halfLds_dp_ip_CI_unitstride_sbrr_R2C_dirReg
    .private_segment_fixed_size: 0
    .sgpr_count:     56
    .sgpr_spill_count: 0
    .symbol:         fft_rtc_fwd_len544_factors_17_2_16_wgs_102_tpt_34_halfLds_dp_ip_CI_unitstride_sbrr_R2C_dirReg.kd
    .uniform_work_group_size: 1
    .uses_dynamic_stack: false
    .vgpr_count:     256
    .vgpr_spill_count: 0
    .wavefront_size: 32
    .workgroup_processor_mode: 1
amdhsa.target:   amdgcn-amd-amdhsa--gfx1201
amdhsa.version:
  - 1
  - 2
...

	.end_amdgpu_metadata
